;; amdgpu-corpus repo=zjin-lcf/HeCBench kind=compiled arch=gfx90a opt=O3
	.text
	.amdgcn_target "amdgcn-amd-amdhsa--gfx90a"
	.amdhsa_code_object_version 6
	.protected	_Z14calculateForcePA400_A400_dS1_S1_S1_dddddd ; -- Begin function _Z14calculateForcePA400_A400_dS1_S1_S1_dddddd
	.globl	_Z14calculateForcePA400_A400_dS1_S1_S1_dddddd
	.p2align	8
	.type	_Z14calculateForcePA400_A400_dS1_S1_S1_dddddd,@function
_Z14calculateForcePA400_A400_dS1_S1_S1_dddddd: ; @_Z14calculateForcePA400_A400_dS1_S1_S1_dddddd
; %bb.0:
	s_load_dwordx2 s[0:1], s[4:5], 0x5c
	s_load_dwordx16 s[12:27], s[4:5], 0x0
	v_and_b32_e32 v1, 0x3ff, v0
	v_mov_b32_e32 v3, 0
	s_waitcnt lgkmcnt(0)
	s_lshr_b32 s2, s0, 16
	s_and_b32 s0, s0, 0xffff
	s_and_b32 s1, s1, 0xffff
	s_mul_i32 s6, s6, s0
	v_add_u32_e32 v2, s6, v1
	s_mul_i32 s7, s7, s2
	v_bfe_u32 v1, v0, 10, 10
	s_mul_i32 s8, s8, s1
	v_bfe_u32 v0, v0, 20, 10
	v_add_u32_e32 v32, s7, v1
	v_add_u32_e32 v33, s8, v0
	v_max3_u32 v0, v2, v32, v33
	s_movk_i32 s0, 0x18e
	v_cmp_lt_u32_e32 vcc, s0, v0
	v_cmp_eq_u32_e64 s[0:1], 0, v33
	v_cmp_eq_u32_e64 s[2:3], 0, v32
	s_or_b64 s[0:1], s[0:1], s[2:3]
	s_or_b64 s[0:1], s[0:1], vcc
	v_cmp_eq_u32_e32 vcc, 0, v2
	s_mov_b32 s6, 0
	s_or_b64 s[0:1], vcc, s[0:1]
	s_and_saveexec_b64 s[2:3], s[0:1]
	s_xor_b64 s[0:1], exec, s[2:3]
	s_cbranch_execnz .LBB0_3
; %bb.1:
	s_andn2_saveexec_b64 s[0:1], s[0:1]
	s_cbranch_execnz .LBB0_4
.LBB0_2:
	s_endpgm
.LBB0_3:
	s_mov_b32 s8, 0x138800
	v_pk_mov_b32 v[0:1], s[14:15], s[14:15] op_sel:[0,1]
	v_mad_u64_u32 v[0:1], s[2:3], v33, s8, v[0:1]
	s_movk_i32 s9, 0xc80
	v_mad_u64_u32 v[0:1], s[2:3], v32, s9, v[0:1]
	v_lshlrev_b64 v[2:3], 3, v[2:3]
	v_add_co_u32_e32 v0, vcc, v0, v2
	s_mov_b32 s7, s6
	v_addc_co_u32_e32 v1, vcc, v1, v3, vcc
	v_pk_mov_b32 v[4:5], s[6:7], s[6:7] op_sel:[0,1]
	global_store_dwordx2 v[0:1], v[4:5], off
	v_pk_mov_b32 v[0:1], s[16:17], s[16:17] op_sel:[0,1]
	v_mad_u64_u32 v[0:1], s[2:3], v33, s8, v[0:1]
	v_mad_u64_u32 v[0:1], s[2:3], v32, s9, v[0:1]
	v_add_co_u32_e32 v0, vcc, v0, v2
	v_addc_co_u32_e32 v1, vcc, v1, v3, vcc
	global_store_dwordx2 v[0:1], v[4:5], off
	v_pk_mov_b32 v[0:1], s[18:19], s[18:19] op_sel:[0,1]
	v_mad_u64_u32 v[0:1], s[2:3], v33, s8, v[0:1]
	v_mad_u64_u32 v[0:1], s[2:3], v32, s9, v[0:1]
	v_add_co_u32_e32 v0, vcc, v0, v2
	v_addc_co_u32_e32 v1, vcc, v1, v3, vcc
	global_store_dwordx2 v[0:1], v[4:5], off
                                        ; implicit-def: $vgpr33
                                        ; implicit-def: $vgpr32
                                        ; implicit-def: $vgpr2
	s_andn2_saveexec_b64 s[0:1], s[0:1]
	s_cbranch_execz .LBB0_2
.LBB0_4:
	v_mov_b32_e32 v0, s12
	v_mov_b32_e32 v1, s13
	s_mov_b32 s0, 0x138800
	v_mad_u64_u32 v[4:5], s[0:1], v33, s0, v[0:1]
	v_mov_b32_e32 v3, 0
	s_movk_i32 s2, 0xc80
	v_lshlrev_b64 v[0:1], 3, v[2:3]
	v_mad_u64_u32 v[6:7], s[0:1], v32, s2, v[4:5]
	v_add_co_u32_e32 v8, vcc, v6, v0
	v_addc_co_u32_e32 v9, vcc, v7, v1, vcc
	s_mov_b32 s0, 0x138000
	v_add_co_u32_e32 v10, vcc, s0, v8
	v_addc_co_u32_e32 v11, vcc, 0, v9, vcc
	s_mov_b32 s0, 0xffec8000
	v_add_co_u32_e32 v12, vcc, s0, v8
	v_add_u32_e32 v14, -1, v32
	v_addc_co_u32_e32 v13, vcc, -1, v9, vcc
	v_mad_u64_u32 v[4:5], s[0:1], v14, s2, v[4:5]
	v_add_co_u32_e32 v4, vcc, v4, v0
	v_add_u32_e32 v2, -1, v2
	v_addc_co_u32_e32 v5, vcc, v5, v1, vcc
	v_lshlrev_b64 v[2:3], 3, v[2:3]
	global_load_dwordx2 v[12:13], v[12:13], off offset:-2048
	v_add_co_u32_e32 v2, vcc, v6, v2
	v_addc_co_u32_e32 v3, vcc, v7, v3, vcc
	global_load_dwordx2 v[6:7], v[4:5], off
	global_load_dwordx2 v[14:15], v[2:3], off
	global_load_dwordx2 v[16:17], v[10:11], off offset:2048
	global_load_dwordx2 v[18:19], v[8:9], off offset:3200
	global_load_dwordx2 v[20:21], v[8:9], off offset:8
	v_add_f64 v[2:3], s[20:21], s[20:21]
	v_add_f64 v[4:5], s[22:23], s[22:23]
	;; [unrolled: 1-line block ×3, first 2 shown]
	s_waitcnt vmcnt(2)
	v_add_f64 v[8:9], v[16:17], -v[12:13]
	s_waitcnt vmcnt(1)
	v_add_f64 v[6:7], v[18:19], -v[6:7]
	;; [unrolled: 2-line block ×3, first 2 shown]
	v_div_scale_f64 v[14:15], s[0:1], v[2:3], v[2:3], v[8:9]
	v_div_scale_f64 v[18:19], s[0:1], v[4:5], v[4:5], v[6:7]
	v_rcp_f64_e32 v[24:25], v[14:15]
	v_div_scale_f64 v[22:23], s[2:3], v[10:11], v[10:11], v[12:13]
	v_rcp_f64_e32 v[26:27], v[18:19]
	v_rcp_f64_e32 v[28:29], v[22:23]
	v_fma_f64 v[34:35], -v[14:15], v[24:25], 1.0
	v_fmac_f64_e32 v[24:25], v[24:25], v[34:35]
	v_fma_f64 v[36:37], -v[18:19], v[26:27], 1.0
	v_fma_f64 v[38:39], -v[22:23], v[28:29], 1.0
	v_fmac_f64_e32 v[26:27], v[26:27], v[36:37]
	v_fma_f64 v[34:35], -v[14:15], v[24:25], 1.0
	v_div_scale_f64 v[16:17], vcc, v[8:9], v[2:3], v[8:9]
	v_fmac_f64_e32 v[28:29], v[28:29], v[38:39]
	v_fma_f64 v[36:37], -v[18:19], v[26:27], 1.0
	v_fmac_f64_e32 v[24:25], v[24:25], v[34:35]
	v_div_scale_f64 v[20:21], s[0:1], v[6:7], v[4:5], v[6:7]
	v_fma_f64 v[38:39], -v[22:23], v[28:29], 1.0
	v_fmac_f64_e32 v[26:27], v[26:27], v[36:37]
	v_mul_f64 v[34:35], v[16:17], v[24:25]
	v_div_scale_f64 v[30:31], s[2:3], v[12:13], v[10:11], v[12:13]
	v_fmac_f64_e32 v[28:29], v[28:29], v[38:39]
	v_mul_f64 v[36:37], v[20:21], v[26:27]
	v_fma_f64 v[14:15], -v[14:15], v[34:35], v[16:17]
	v_mul_f64 v[38:39], v[30:31], v[28:29]
	v_fma_f64 v[16:17], -v[18:19], v[36:37], v[20:21]
	v_div_fmas_f64 v[14:15], v[14:15], v[24:25], v[34:35]
	s_mov_b64 vcc, s[0:1]
	v_fma_f64 v[18:19], -v[22:23], v[38:39], v[30:31]
	v_div_fixup_f64 v[14:15], v[14:15], v[2:3], v[8:9]
	v_div_fmas_f64 v[2:3], v[16:17], v[26:27], v[36:37]
	s_mov_b64 vcc, s[2:3]
	v_div_fixup_f64 v[8:9], v[2:3], v[4:5], v[6:7]
	v_div_fmas_f64 v[2:3], v[18:19], v[28:29], v[38:39]
	v_cmp_neq_f64_e64 s[0:1], 0, v[14:15]
	v_div_fixup_f64 v[2:3], v[2:3], v[10:11], v[12:13]
	v_cmp_neq_f64_e64 s[2:3], 0, v[8:9]
	v_mul_f64 v[4:5], v[8:9], v[8:9]
	s_or_b64 s[8:9], s[0:1], s[2:3]
	v_cmp_neq_f64_e64 s[6:7], 0, v[2:3]
	v_fma_f64 v[6:7], v[14:15], v[14:15], v[4:5]
	s_or_b64 s[8:9], s[8:9], s[6:7]
	v_fma_f64 v[18:19], v[2:3], v[2:3], v[6:7]
	s_xor_b64 s[10:11], s[8:9], -1
                                        ; implicit-def: $vgpr22_vgpr23
	s_and_saveexec_b64 s[12:13], s[10:11]
	s_xor_b64 s[10:11], exec, s[12:13]
; %bb.5:
	v_mov_b32_e32 v10, 0xaaaaaaab
	v_mov_b32_e32 v11, 0xbffaaaaa
	v_fma_f64 v[22:23], s[26:27], v[10:11], 1.0
; %bb.6:
	s_or_saveexec_b64 s[10:11], s[10:11]
	v_mul_f64 v[16:17], v[14:15], v[14:15]
	v_mul_f64 v[12:13], v[4:5], v[4:5]
	;; [unrolled: 1-line block ×4, first 2 shown]
	v_fmac_f64_e32 v[12:13], v[16:17], v[16:17]
	s_xor_b64 exec, exec, s[10:11]
	s_cbranch_execz .LBB0_8
; %bb.7:
	v_mov_b32_e32 v22, 0
	v_mov_b32_e32 v23, 0xc0080000
	v_fma_f64 v[22:23], s[26:27], v[22:23], 1.0
	v_mul_f64 v[24:25], s[26:27], 4.0
	v_div_scale_f64 v[26:27], s[12:13], v[22:23], v[22:23], v[24:25]
	v_rcp_f64_e32 v[28:29], v[26:27]
	v_fma_f64 v[30:31], -v[26:27], v[28:29], 1.0
	v_fmac_f64_e32 v[28:29], v[28:29], v[30:31]
	v_fma_f64 v[30:31], -v[26:27], v[28:29], 1.0
	v_fmac_f64_e32 v[28:29], v[28:29], v[30:31]
	v_div_scale_f64 v[30:31], vcc, v[24:25], v[22:23], v[24:25]
	v_mul_f64 v[34:35], v[30:31], v[28:29]
	v_fma_f64 v[26:27], -v[26:27], v[34:35], v[30:31]
	v_fma_f64 v[30:31], v[10:11], v[10:11], v[12:13]
	v_div_scale_f64 v[36:37], s[12:13], v[20:21], v[20:21], v[30:31]
	v_rcp_f64_e32 v[38:39], v[36:37]
	v_div_fmas_f64 v[26:27], v[26:27], v[28:29], v[34:35]
	v_div_fixup_f64 v[24:25], v[26:27], v[22:23], v[24:25]
	v_fma_f64 v[26:27], -v[36:37], v[38:39], 1.0
	v_fmac_f64_e32 v[38:39], v[38:39], v[26:27]
	v_fma_f64 v[26:27], -v[36:37], v[38:39], 1.0
	v_fmac_f64_e32 v[38:39], v[38:39], v[26:27]
	v_div_scale_f64 v[26:27], vcc, v[30:31], v[20:21], v[30:31]
	v_mul_f64 v[28:29], v[26:27], v[38:39]
	v_fma_f64 v[26:27], -v[36:37], v[28:29], v[26:27]
	s_nop 1
	v_div_fmas_f64 v[26:27], v[26:27], v[38:39], v[28:29]
	v_div_fixup_f64 v[26:27], v[26:27], v[20:21], v[30:31]
	v_fma_f64 v[24:25], v[24:25], v[26:27], 1.0
	v_mul_f64 v[22:23], v[22:23], v[24:25]
.LBB0_8:
	s_or_b64 exec, exec, s[10:11]
	v_pk_mov_b32 v[26:27], 0, 0
	v_add_f64 v[24:25], v[4:5], v[10:11]
	v_mul_f64 v[28:29], v[10:11], v[10:11]
	v_pk_mov_b32 v[30:31], v[26:27], v[26:27] op_sel:[0,1]
	s_and_saveexec_b64 s[10:11], s[8:9]
	s_cbranch_execz .LBB0_10
; %bb.9:
	v_fma_f64 v[34:35], v[4:5], v[4:5], v[28:29]
	v_mul_f64 v[30:31], v[14:15], v[16:17]
	v_mul_f64 v[34:35], v[14:15], v[34:35]
	v_fma_f64 v[30:31], v[30:31], v[24:25], -v[34:35]
	v_div_scale_f64 v[34:35], s[8:9], v[20:21], v[20:21], v[30:31]
	v_rcp_f64_e32 v[36:37], v[34:35]
	v_fma_f64 v[38:39], -v[34:35], v[36:37], 1.0
	v_fmac_f64_e32 v[36:37], v[36:37], v[38:39]
	v_fma_f64 v[38:39], -v[34:35], v[36:37], 1.0
	v_fmac_f64_e32 v[36:37], v[36:37], v[38:39]
	v_div_scale_f64 v[38:39], vcc, v[30:31], v[20:21], v[30:31]
	v_mul_f64 v[40:41], v[38:39], v[36:37]
	v_fma_f64 v[34:35], -v[34:35], v[40:41], v[38:39]
	s_nop 1
	v_div_fmas_f64 v[34:35], v[34:35], v[36:37], v[40:41]
	v_div_fixup_f64 v[30:31], v[34:35], v[20:21], v[30:31]
.LBB0_10:
	s_or_b64 exec, exec, s[10:11]
	s_load_dwordx2 s[4:5], s[4:5], 0x40
	s_mov_b32 s8, 0x138800
	s_movk_i32 s9, 0xc80
	s_waitcnt lgkmcnt(0)
	v_ldexp_f64 v[20:21], s[4:5], 4
	v_mul_f64 v[22:23], v[22:23], s[4:5]
	v_mul_f64 v[34:35], v[20:21], s[26:27]
	;; [unrolled: 1-line block ×6, first 2 shown]
	v_fmac_f64_e32 v[22:23], v[14:15], v[20:21]
	v_pk_mov_b32 v[14:15], s[14:15], s[14:15] op_sel:[0,1]
	v_mad_u64_u32 v[14:15], s[4:5], v33, s8, v[14:15]
	v_mad_u64_u32 v[14:15], s[4:5], v32, s9, v[14:15]
	v_add_co_u32_e32 v14, vcc, v14, v0
	v_addc_co_u32_e32 v15, vcc, v15, v1, vcc
	s_or_b64 s[4:5], s[2:3], s[6:7]
	global_store_dwordx2 v[14:15], v[22:23], off
	s_or_b64 s[10:11], s[0:1], s[4:5]
	v_add_f64 v[14:15], v[16:17], v[10:11]
	s_and_saveexec_b64 s[4:5], s[10:11]
	s_cbranch_execz .LBB0_12
; %bb.11:
	v_fmac_f64_e32 v[28:29], v[16:17], v[16:17]
	v_mul_f64 v[22:23], v[8:9], v[4:5]
	v_mul_f64 v[26:27], v[8:9], v[28:29]
	v_add_f64 v[16:17], v[16:17], v[24:25]
	v_fma_f64 v[22:23], v[22:23], v[14:15], -v[26:27]
	v_mul_f64 v[16:17], v[16:17], v[16:17]
	v_div_scale_f64 v[24:25], s[10:11], v[16:17], v[16:17], v[22:23]
	v_rcp_f64_e32 v[26:27], v[24:25]
	v_fma_f64 v[28:29], -v[24:25], v[26:27], 1.0
	v_fmac_f64_e32 v[26:27], v[26:27], v[28:29]
	v_fma_f64 v[28:29], -v[24:25], v[26:27], 1.0
	v_fmac_f64_e32 v[26:27], v[26:27], v[28:29]
	v_div_scale_f64 v[28:29], vcc, v[22:23], v[16:17], v[22:23]
	v_mul_f64 v[30:31], v[28:29], v[26:27]
	v_fma_f64 v[24:25], -v[24:25], v[30:31], v[28:29]
	s_nop 1
	v_div_fmas_f64 v[24:25], v[24:25], v[26:27], v[30:31]
	v_div_fixup_f64 v[26:27], v[24:25], v[16:17], v[22:23]
.LBB0_12:
	s_or_b64 exec, exec, s[4:5]
	v_mul_f64 v[16:17], v[18:19], v[26:27]
	v_fmac_f64_e32 v[16:17], v[8:9], v[20:21]
	v_pk_mov_b32 v[8:9], s[16:17], s[16:17] op_sel:[0,1]
	v_mad_u64_u32 v[8:9], s[4:5], v33, s8, v[8:9]
	v_mad_u64_u32 v[8:9], s[4:5], v32, s9, v[8:9]
	v_add_co_u32_e32 v8, vcc, v8, v0
	v_addc_co_u32_e32 v9, vcc, v9, v1, vcc
	s_or_b64 s[0:1], s[0:1], s[6:7]
	global_store_dwordx2 v[8:9], v[16:17], off
	s_or_b64 s[2:3], s[2:3], s[0:1]
	v_pk_mov_b32 v[8:9], 0, 0
	s_and_saveexec_b64 s[0:1], s[2:3]
	s_cbranch_execz .LBB0_14
; %bb.13:
	v_mul_f64 v[8:9], v[2:3], v[10:11]
	v_mul_f64 v[10:11], v[2:3], v[12:13]
	v_add_f64 v[4:5], v[4:5], v[14:15]
	v_fma_f64 v[6:7], v[6:7], v[8:9], -v[10:11]
	v_mul_f64 v[4:5], v[4:5], v[4:5]
	v_div_scale_f64 v[8:9], s[2:3], v[4:5], v[4:5], v[6:7]
	v_rcp_f64_e32 v[10:11], v[8:9]
	v_fma_f64 v[12:13], -v[8:9], v[10:11], 1.0
	v_fmac_f64_e32 v[10:11], v[10:11], v[12:13]
	v_fma_f64 v[12:13], -v[8:9], v[10:11], 1.0
	v_fmac_f64_e32 v[10:11], v[10:11], v[12:13]
	v_div_scale_f64 v[12:13], vcc, v[6:7], v[4:5], v[6:7]
	v_mul_f64 v[14:15], v[12:13], v[10:11]
	v_fma_f64 v[8:9], -v[8:9], v[14:15], v[12:13]
	s_nop 1
	v_div_fmas_f64 v[8:9], v[8:9], v[10:11], v[14:15]
	v_div_fixup_f64 v[8:9], v[8:9], v[4:5], v[6:7]
.LBB0_14:
	s_or_b64 exec, exec, s[0:1]
	v_mul_f64 v[4:5], v[18:19], v[8:9]
	v_fmac_f64_e32 v[4:5], v[2:3], v[20:21]
	s_mov_b32 s0, 0x138800
	v_pk_mov_b32 v[2:3], s[18:19], s[18:19] op_sel:[0,1]
	v_mad_u64_u32 v[2:3], s[0:1], v33, s0, v[2:3]
	s_movk_i32 s0, 0xc80
	v_mad_u64_u32 v[2:3], s[0:1], v32, s0, v[2:3]
	v_add_co_u32_e32 v0, vcc, v2, v0
	v_addc_co_u32_e32 v1, vcc, v3, v1, vcc
	global_store_dwordx2 v[0:1], v[4:5], off
	s_endpgm
	.section	.rodata,"a",@progbits
	.p2align	6, 0x0
	.amdhsa_kernel _Z14calculateForcePA400_A400_dS1_S1_S1_dddddd
		.amdhsa_group_segment_fixed_size 0
		.amdhsa_private_segment_fixed_size 0
		.amdhsa_kernarg_size 336
		.amdhsa_user_sgpr_count 6
		.amdhsa_user_sgpr_private_segment_buffer 1
		.amdhsa_user_sgpr_dispatch_ptr 0
		.amdhsa_user_sgpr_queue_ptr 0
		.amdhsa_user_sgpr_kernarg_segment_ptr 1
		.amdhsa_user_sgpr_dispatch_id 0
		.amdhsa_user_sgpr_flat_scratch_init 0
		.amdhsa_user_sgpr_kernarg_preload_length 0
		.amdhsa_user_sgpr_kernarg_preload_offset 0
		.amdhsa_user_sgpr_private_segment_size 0
		.amdhsa_uses_dynamic_stack 0
		.amdhsa_system_sgpr_private_segment_wavefront_offset 0
		.amdhsa_system_sgpr_workgroup_id_x 1
		.amdhsa_system_sgpr_workgroup_id_y 1
		.amdhsa_system_sgpr_workgroup_id_z 1
		.amdhsa_system_sgpr_workgroup_info 0
		.amdhsa_system_vgpr_workitem_id 2
		.amdhsa_next_free_vgpr 42
		.amdhsa_next_free_sgpr 28
		.amdhsa_accum_offset 44
		.amdhsa_reserve_vcc 1
		.amdhsa_reserve_flat_scratch 0
		.amdhsa_float_round_mode_32 0
		.amdhsa_float_round_mode_16_64 0
		.amdhsa_float_denorm_mode_32 3
		.amdhsa_float_denorm_mode_16_64 3
		.amdhsa_dx10_clamp 1
		.amdhsa_ieee_mode 1
		.amdhsa_fp16_overflow 0
		.amdhsa_tg_split 0
		.amdhsa_exception_fp_ieee_invalid_op 0
		.amdhsa_exception_fp_denorm_src 0
		.amdhsa_exception_fp_ieee_div_zero 0
		.amdhsa_exception_fp_ieee_overflow 0
		.amdhsa_exception_fp_ieee_underflow 0
		.amdhsa_exception_fp_ieee_inexact 0
		.amdhsa_exception_int_div_zero 0
	.end_amdhsa_kernel
	.text
.Lfunc_end0:
	.size	_Z14calculateForcePA400_A400_dS1_S1_S1_dddddd, .Lfunc_end0-_Z14calculateForcePA400_A400_dS1_S1_S1_dddddd
                                        ; -- End function
	.section	.AMDGPU.csdata,"",@progbits
; Kernel info:
; codeLenInByte = 1852
; NumSgprs: 32
; NumVgprs: 42
; NumAgprs: 0
; TotalNumVgprs: 42
; ScratchSize: 0
; MemoryBound: 0
; FloatMode: 240
; IeeeMode: 1
; LDSByteSize: 0 bytes/workgroup (compile time only)
; SGPRBlocks: 3
; VGPRBlocks: 5
; NumSGPRsForWavesPerEU: 32
; NumVGPRsForWavesPerEU: 42
; AccumOffset: 44
; Occupancy: 8
; WaveLimiterHint : 0
; COMPUTE_PGM_RSRC2:SCRATCH_EN: 0
; COMPUTE_PGM_RSRC2:USER_SGPR: 6
; COMPUTE_PGM_RSRC2:TRAP_HANDLER: 0
; COMPUTE_PGM_RSRC2:TGID_X_EN: 1
; COMPUTE_PGM_RSRC2:TGID_Y_EN: 1
; COMPUTE_PGM_RSRC2:TGID_Z_EN: 1
; COMPUTE_PGM_RSRC2:TIDIG_COMP_CNT: 2
; COMPUTE_PGM_RSRC3_GFX90A:ACCUM_OFFSET: 10
; COMPUTE_PGM_RSRC3_GFX90A:TG_SPLIT: 0
	.text
	.protected	_Z9allenCahnPA400_A400_dS1_S1_S1_S1_S1_dddddddd ; -- Begin function _Z9allenCahnPA400_A400_dS1_S1_S1_S1_S1_dddddddd
	.globl	_Z9allenCahnPA400_A400_dS1_S1_S1_S1_S1_dddddddd
	.p2align	8
	.type	_Z9allenCahnPA400_A400_dS1_S1_S1_S1_S1_dddddddd,@function
_Z9allenCahnPA400_A400_dS1_S1_S1_S1_S1_dddddddd: ; @_Z9allenCahnPA400_A400_dS1_S1_S1_S1_S1_dddddddd
; %bb.0:
	s_load_dwordx2 s[0:1], s[4:5], 0x7c
	v_and_b32_e32 v1, 0x3ff, v0
	s_waitcnt lgkmcnt(0)
	s_lshr_b32 s2, s0, 16
	s_and_b32 s0, s0, 0xffff
	s_and_b32 s1, s1, 0xffff
	s_mul_i32 s6, s6, s0
	v_add_u32_e32 v6, s6, v1
	s_mul_i32 s7, s7, s2
	v_bfe_u32 v1, v0, 10, 10
	s_mul_i32 s8, s8, s1
	v_bfe_u32 v0, v0, 20, 10
	v_add_u32_e32 v28, s7, v1
	v_add_u32_e32 v29, s8, v0
	v_max3_u32 v0, v6, v28, v29
	s_movk_i32 s0, 0x18f
	v_cmp_gt_u32_e32 vcc, s0, v0
	v_cmp_ne_u32_e64 s[0:1], 0, v29
	v_cmp_ne_u32_e64 s[2:3], 0, v28
	s_and_b64 s[0:1], s[0:1], s[2:3]
	s_and_b64 s[0:1], s[0:1], vcc
	v_cmp_ne_u32_e32 vcc, 0, v6
	s_and_b64 s[0:1], vcc, s[0:1]
	s_and_saveexec_b64 s[2:3], s[0:1]
	s_cbranch_execz .LBB1_10
; %bb.1:
	s_load_dwordx8 s[8:15], s[4:5], 0x0
	s_mov_b32 s0, 0x138800
	v_mov_b32_e32 v7, 0
	s_movk_i32 s2, 0xc80
	v_lshlrev_b64 v[4:5], 3, v[6:7]
	s_waitcnt lgkmcnt(0)
	v_mov_b32_e32 v0, s10
	v_mov_b32_e32 v1, s11
	v_mad_u64_u32 v[0:1], s[0:1], v29, s0, v[0:1]
	v_mad_u64_u32 v[8:9], s[0:1], v28, s2, v[0:1]
	v_add_co_u32_e32 v10, vcc, v8, v4
	v_addc_co_u32_e32 v11, vcc, v9, v5, vcc
	s_mov_b32 s0, 0x138000
	v_add_co_u32_e32 v14, vcc, s0, v10
	v_addc_co_u32_e32 v15, vcc, 0, v11, vcc
	s_mov_b32 s0, 0xffec8000
	v_add_co_u32_e32 v16, vcc, s0, v10
	v_add_u32_e32 v30, -1, v28
	v_addc_co_u32_e32 v17, vcc, -1, v11, vcc
	v_mad_u64_u32 v[0:1], s[0:1], v30, s2, v[0:1]
	v_add_co_u32_e32 v18, vcc, v0, v4
	v_add_u32_e32 v6, -1, v6
	v_addc_co_u32_e32 v19, vcc, v1, v5, vcc
	v_lshlrev_b64 v[12:13], 3, v[6:7]
	v_add_co_u32_e32 v6, vcc, v8, v12
	global_load_dwordx2 v[20:21], v[10:11], off offset:3200
	global_load_dwordx4 v[0:3], v[10:11], off
	v_addc_co_u32_e32 v7, vcc, v9, v13, vcc
	global_load_dwordx2 v[22:23], v[14:15], off offset:2048
	global_load_dwordx2 v[24:25], v[16:17], off offset:-2048
	global_load_dwordx2 v[26:27], v[18:19], off
	global_load_dwordx2 v[32:33], v[6:7], off
	s_load_dwordx8 s[16:23], s[4:5], 0x40
	s_load_dwordx4 s[0:3], s[4:5], 0x60
	s_load_dwordx4 s[24:27], s[4:5], 0x30
	s_waitcnt lgkmcnt(0)
	v_add_f64 v[10:11], s[22:23], s[22:23]
	v_add_f64 v[8:9], s[0:1], s[0:1]
	;; [unrolled: 1-line block ×3, first 2 shown]
	s_waitcnt vmcnt(2)
	v_add_f64 v[14:15], v[22:23], -v[24:25]
	s_waitcnt vmcnt(1)
	v_add_f64 v[16:17], v[20:21], -v[26:27]
	v_div_scale_f64 v[18:19], s[0:1], v[10:11], v[10:11], v[14:15]
	s_waitcnt vmcnt(0)
	v_add_f64 v[2:3], v[2:3], -v[32:33]
	v_div_scale_f64 v[22:23], s[0:1], v[8:9], v[8:9], v[16:17]
	v_rcp_f64_e32 v[32:33], v[18:19]
	v_div_scale_f64 v[26:27], s[2:3], v[6:7], v[6:7], v[2:3]
	v_rcp_f64_e32 v[34:35], v[22:23]
	v_rcp_f64_e32 v[36:37], v[26:27]
	v_fma_f64 v[40:41], -v[18:19], v[32:33], 1.0
	v_fmac_f64_e32 v[32:33], v[32:33], v[40:41]
	v_fma_f64 v[42:43], -v[22:23], v[34:35], 1.0
	v_fma_f64 v[44:45], -v[26:27], v[36:37], 1.0
	v_fmac_f64_e32 v[34:35], v[34:35], v[42:43]
	v_fma_f64 v[40:41], -v[18:19], v[32:33], 1.0
	v_div_scale_f64 v[20:21], vcc, v[14:15], v[10:11], v[14:15]
	v_fmac_f64_e32 v[36:37], v[36:37], v[44:45]
	v_fma_f64 v[42:43], -v[22:23], v[34:35], 1.0
	v_fmac_f64_e32 v[32:33], v[32:33], v[40:41]
	v_div_scale_f64 v[24:25], s[0:1], v[16:17], v[8:9], v[16:17]
	v_fma_f64 v[44:45], -v[26:27], v[36:37], 1.0
	v_fmac_f64_e32 v[34:35], v[34:35], v[42:43]
	v_mul_f64 v[40:41], v[20:21], v[32:33]
	v_div_scale_f64 v[38:39], s[2:3], v[2:3], v[6:7], v[2:3]
	v_fmac_f64_e32 v[36:37], v[36:37], v[44:45]
	v_mul_f64 v[42:43], v[24:25], v[34:35]
	v_fma_f64 v[18:19], -v[18:19], v[40:41], v[20:21]
	v_mul_f64 v[44:45], v[38:39], v[36:37]
	v_fma_f64 v[20:21], -v[22:23], v[42:43], v[24:25]
	v_div_fmas_f64 v[18:19], v[18:19], v[32:33], v[40:41]
	s_mov_b64 vcc, s[0:1]
	v_fma_f64 v[22:23], -v[26:27], v[44:45], v[38:39]
	v_div_fixup_f64 v[26:27], v[18:19], v[10:11], v[14:15]
	v_div_fmas_f64 v[14:15], v[20:21], v[34:35], v[42:43]
	s_mov_b64 vcc, s[2:3]
	v_div_fixup_f64 v[16:17], v[14:15], v[8:9], v[16:17]
	v_div_fmas_f64 v[14:15], v[22:23], v[36:37], v[44:45]
	v_cmp_eq_f64_e32 vcc, 0, v[26:27]
	v_div_fixup_f64 v[14:15], v[14:15], v[6:7], v[2:3]
	v_cmp_eq_f64_e64 s[0:1], 0, v[16:17]
	s_and_b64 s[0:1], vcc, s[0:1]
	v_cmp_eq_f64_e32 vcc, 0, v[14:15]
	s_and_b64 s[6:7], s[0:1], vcc
                                        ; implicit-def: $vgpr2_vgpr3
	s_and_saveexec_b64 s[0:1], s[6:7]
	s_xor_b64 s[0:1], exec, s[0:1]
; %bb.2:
	v_mov_b32_e32 v2, 0xaaaaaaab
	v_mov_b32_e32 v3, 0xbffaaaaa
	v_fma_f64 v[2:3], s[24:25], v[2:3], 1.0
; %bb.3:
	s_or_saveexec_b64 s[10:11], s[0:1]
	s_load_dwordx4 s[0:3], s[4:5], 0x20
	v_mul_f64 v[22:23], v[16:17], v[16:17]
	v_mul_f64 v[20:21], v[26:27], v[26:27]
	;; [unrolled: 1-line block ×3, first 2 shown]
	v_mul_f64 v[18:19], s[24:25], 4.0
	v_mul_f64 v[16:17], v[22:23], v[22:23]
	v_fmac_f64_e32 v[22:23], v[26:27], v[26:27]
	s_xor_b64 exec, exec, s[10:11]
	s_cbranch_execz .LBB1_5
; %bb.4:
	v_mov_b32_e32 v2, 0
	v_mov_b32_e32 v3, 0xc0080000
	v_fma_f64 v[2:3], s[24:25], v[2:3], 1.0
	v_div_scale_f64 v[26:27], s[4:5], v[2:3], v[2:3], v[18:19]
	v_rcp_f64_e32 v[32:33], v[26:27]
	v_div_scale_f64 v[34:35], vcc, v[18:19], v[2:3], v[18:19]
	v_fma_f64 v[38:39], v[14:15], v[14:15], v[22:23]
	v_fma_f64 v[36:37], -v[26:27], v[32:33], 1.0
	v_fmac_f64_e32 v[32:33], v[32:33], v[36:37]
	v_fma_f64 v[36:37], -v[26:27], v[32:33], 1.0
	v_fmac_f64_e32 v[32:33], v[32:33], v[36:37]
	v_mul_f64 v[36:37], v[34:35], v[32:33]
	v_fma_f64 v[26:27], -v[26:27], v[36:37], v[34:35]
	v_fma_f64 v[34:35], v[20:21], v[20:21], v[16:17]
	v_fmac_f64_e32 v[34:35], v[24:25], v[24:25]
	v_mul_f64 v[38:39], v[38:39], v[38:39]
	v_div_scale_f64 v[40:41], s[4:5], v[38:39], v[38:39], v[34:35]
	v_rcp_f64_e32 v[42:43], v[40:41]
	v_div_fmas_f64 v[26:27], v[26:27], v[32:33], v[36:37]
	v_div_fixup_f64 v[26:27], v[26:27], v[2:3], v[18:19]
	v_fma_f64 v[32:33], -v[40:41], v[42:43], 1.0
	v_fmac_f64_e32 v[42:43], v[42:43], v[32:33]
	v_fma_f64 v[32:33], -v[40:41], v[42:43], 1.0
	v_fmac_f64_e32 v[42:43], v[42:43], v[32:33]
	v_div_scale_f64 v[32:33], vcc, v[34:35], v[38:39], v[34:35]
	v_mul_f64 v[36:37], v[32:33], v[42:43]
	v_fma_f64 v[32:33], -v[40:41], v[36:37], v[32:33]
	s_nop 1
	v_div_fmas_f64 v[32:33], v[32:33], v[42:43], v[36:37]
	v_div_fixup_f64 v[32:33], v[32:33], v[38:39], v[34:35]
	v_fma_f64 v[26:27], v[26:27], v[32:33], 1.0
	v_mul_f64 v[2:3], v[2:3], v[26:27]
.LBB1_5:
	s_or_b64 exec, exec, s[10:11]
                                        ; implicit-def: $vgpr26_vgpr27
	s_and_saveexec_b64 s[4:5], s[6:7]
	s_xor_b64 s[4:5], exec, s[4:5]
	s_cbranch_execz .LBB1_7
; %bb.6:
	v_mov_b32_e32 v14, 0xaaaaaaab
	v_mov_b32_e32 v15, 0xbffaaaaa
	v_fma_f64 v[26:27], s[24:25], v[14:15], 1.0
                                        ; implicit-def: $vgpr18_vgpr19
                                        ; implicit-def: $vgpr20_vgpr21
                                        ; implicit-def: $vgpr16_vgpr17
                                        ; implicit-def: $vgpr24_vgpr25
                                        ; implicit-def: $vgpr14_vgpr15
                                        ; implicit-def: $vgpr22_vgpr23
	s_andn2_saveexec_b64 s[4:5], s[4:5]
	s_cbranch_execnz .LBB1_8
	s_branch .LBB1_9
.LBB1_7:
	s_andn2_saveexec_b64 s[4:5], s[4:5]
	s_cbranch_execz .LBB1_9
.LBB1_8:
	v_mov_b32_e32 v26, 0
	v_mov_b32_e32 v27, 0xc0080000
	v_fma_f64 v[26:27], s[24:25], v[26:27], 1.0
	v_div_scale_f64 v[32:33], s[6:7], v[26:27], v[26:27], v[18:19]
	v_rcp_f64_e32 v[34:35], v[32:33]
	v_fmac_f64_e32 v[16:17], v[20:21], v[20:21]
	v_fmac_f64_e32 v[22:23], v[14:15], v[14:15]
	;; [unrolled: 1-line block ×3, first 2 shown]
	v_fma_f64 v[38:39], -v[32:33], v[34:35], 1.0
	v_fmac_f64_e32 v[34:35], v[34:35], v[38:39]
	v_mul_f64 v[14:15], v[22:23], v[22:23]
	v_fma_f64 v[38:39], -v[32:33], v[34:35], 1.0
	v_div_scale_f64 v[20:21], s[6:7], v[14:15], v[14:15], v[16:17]
	v_div_scale_f64 v[36:37], vcc, v[18:19], v[26:27], v[18:19]
	v_fmac_f64_e32 v[34:35], v[34:35], v[38:39]
	v_rcp_f64_e32 v[22:23], v[20:21]
	v_mul_f64 v[38:39], v[36:37], v[34:35]
	v_fma_f64 v[32:33], -v[32:33], v[38:39], v[36:37]
	v_div_fmas_f64 v[24:25], v[32:33], v[34:35], v[38:39]
	v_div_fixup_f64 v[18:19], v[24:25], v[26:27], v[18:19]
	v_fma_f64 v[24:25], -v[20:21], v[22:23], 1.0
	v_fmac_f64_e32 v[22:23], v[22:23], v[24:25]
	v_fma_f64 v[24:25], -v[20:21], v[22:23], 1.0
	v_fmac_f64_e32 v[22:23], v[22:23], v[24:25]
	v_div_scale_f64 v[24:25], vcc, v[16:17], v[14:15], v[16:17]
	v_mul_f64 v[32:33], v[24:25], v[22:23]
	v_fma_f64 v[20:21], -v[20:21], v[32:33], v[24:25]
	s_nop 1
	v_div_fmas_f64 v[20:21], v[20:21], v[22:23], v[32:33]
	v_div_fixup_f64 v[14:15], v[20:21], v[14:15], v[16:17]
	v_fma_f64 v[14:15], v[18:19], v[14:15], 1.0
	v_mul_f64 v[26:27], v[26:27], v[14:15]
.LBB1_9:
	s_or_b64 exec, exec, s[4:5]
	v_mul_f64 v[2:3], v[2:3], v[26:27]
	v_mul_f64 v[2:3], v[2:3], s[16:17]
	v_div_scale_f64 v[16:17], s[4:5], v[2:3], v[2:3], s[20:21]
	v_rcp_f64_e32 v[18:19], v[16:17]
	v_mov_b32_e32 v14, s14
	v_mov_b32_e32 v15, s15
	s_mov_b32 s4, 0x138800
	v_fma_f64 v[22:23], -v[16:17], v[18:19], 1.0
	v_fmac_f64_e32 v[18:19], v[18:19], v[22:23]
	v_fma_f64 v[22:23], -v[16:17], v[18:19], 1.0
	v_fmac_f64_e32 v[18:19], v[18:19], v[22:23]
	v_div_scale_f64 v[22:23], vcc, s[20:21], v[2:3], s[20:21]
	s_waitcnt lgkmcnt(0)
	v_mov_b32_e32 v20, s0
	v_mov_b32_e32 v21, s1
	v_mul_f64 v[24:25], v[22:23], v[18:19]
	v_mad_u64_u32 v[14:15], s[0:1], v29, s4, v[14:15]
	s_movk_i32 s5, 0xc80
	v_fma_f64 v[16:17], -v[16:17], v[24:25], v[22:23]
	v_mad_u64_u32 v[14:15], s[0:1], v28, s5, v[14:15]
	v_div_fmas_f64 v[16:17], v[16:17], v[18:19], v[24:25]
	v_add_co_u32_e32 v26, vcc, v14, v4
	v_addc_co_u32_e32 v27, vcc, v15, v5, vcc
	s_mov_b32 s0, 0x138000
	v_add_co_u32_e32 v14, vcc, s0, v26
	v_mad_u64_u32 v[18:19], s[0:1], v29, s4, v[20:21]
	v_mad_u64_u32 v[20:21], s[0:1], v28, s5, v[18:19]
	v_add_co_u32_e64 v20, s[0:1], v20, v4
	v_addc_co_u32_e64 v21, s[0:1], v21, v5, s[0:1]
	v_mad_u64_u32 v[18:19], s[0:1], v30, s5, v[18:19]
	v_add_co_u32_e64 v18, s[0:1], v18, v4
	v_addc_co_u32_e64 v19, s[0:1], v19, v5, s[0:1]
	global_load_dwordx2 v[22:23], v[20:21], off offset:3200
	global_load_dwordx2 v[24:25], v[18:19], off
	v_addc_co_u32_e32 v15, vcc, 0, v27, vcc
	v_add_co_u32_e32 v18, vcc, 0xffec8000, v26
	v_addc_co_u32_e32 v19, vcc, -1, v27, vcc
	global_load_dwordx2 v[20:21], v[14:15], off offset:2048
	global_load_dwordx2 v[26:27], v[18:19], off offset:-2048
	v_mov_b32_e32 v14, s2
	v_mov_b32_e32 v15, s3
	v_mad_u64_u32 v[14:15], s[0:1], v29, s4, v[14:15]
	v_mad_u64_u32 v[14:15], s[0:1], v28, s5, v[14:15]
	v_add_co_u32_e32 v18, vcc, v14, v4
	v_addc_co_u32_e32 v19, vcc, v15, v5, vcc
	v_add_co_u32_e32 v12, vcc, v14, v12
	v_addc_co_u32_e32 v13, vcc, v15, v13, vcc
	global_load_dwordx2 v[14:15], v[18:19], off offset:8
	global_load_dwordx2 v[30:31], v[12:13], off
	v_mov_b32_e32 v12, s12
	v_mov_b32_e32 v13, s13
	v_mad_u64_u32 v[12:13], s[0:1], v29, s4, v[12:13]
	v_mad_u64_u32 v[12:13], s[0:1], v28, s5, v[12:13]
	v_add_co_u32_e32 v12, vcc, v12, v4
	v_addc_co_u32_e32 v13, vcc, v13, v5, vcc
	global_load_dwordx2 v[12:13], v[12:13], off
	v_div_fixup_f64 v[2:3], v[16:17], v[2:3], s[20:21]
	v_mov_b32_e32 v32, s8
	v_mov_b32_e32 v33, s9
	s_waitcnt vmcnt(5)
	v_add_f64 v[18:19], v[22:23], -v[24:25]
	v_div_scale_f64 v[22:23], s[0:1], v[8:9], v[8:9], v[18:19]
	v_rcp_f64_e32 v[24:25], v[22:23]
	v_fma_f64 v[16:17], -v[22:23], v[24:25], 1.0
	v_fmac_f64_e32 v[24:25], v[24:25], v[16:17]
	s_waitcnt vmcnt(3)
	v_add_f64 v[16:17], v[20:21], -v[26:27]
	v_div_scale_f64 v[20:21], s[0:1], v[10:11], v[10:11], v[16:17]
	v_rcp_f64_e32 v[26:27], v[20:21]
	v_div_scale_f64 v[36:37], vcc, v[16:17], v[10:11], v[16:17]
	v_fma_f64 v[34:35], -v[22:23], v[24:25], 1.0
	v_fma_f64 v[38:39], -v[20:21], v[26:27], 1.0
	v_fmac_f64_e32 v[26:27], v[26:27], v[38:39]
	v_fma_f64 v[38:39], -v[20:21], v[26:27], 1.0
	v_fmac_f64_e32 v[26:27], v[26:27], v[38:39]
	v_mul_f64 v[38:39], v[36:37], v[26:27]
	v_fma_f64 v[20:21], -v[20:21], v[38:39], v[36:37]
	v_div_fmas_f64 v[20:21], v[20:21], v[26:27], v[38:39]
	v_div_fixup_f64 v[10:11], v[20:21], v[10:11], v[16:17]
	v_fmac_f64_e32 v[24:25], v[24:25], v[34:35]
	v_div_scale_f64 v[16:17], vcc, v[18:19], v[8:9], v[18:19]
	v_mul_f64 v[20:21], v[16:17], v[24:25]
	s_waitcnt vmcnt(1)
	v_add_f64 v[14:15], v[14:15], -v[30:31]
	v_fma_f64 v[16:17], -v[22:23], v[20:21], v[16:17]
	v_div_scale_f64 v[22:23], s[0:1], v[6:7], v[6:7], v[14:15]
	v_rcp_f64_e32 v[26:27], v[22:23]
	v_div_fmas_f64 v[16:17], v[16:17], v[24:25], v[20:21]
	v_div_fixup_f64 v[8:9], v[16:17], v[8:9], v[18:19]
	v_add_f64 v[8:9], v[10:11], v[8:9]
	v_fma_f64 v[10:11], -v[22:23], v[26:27], 1.0
	v_fmac_f64_e32 v[26:27], v[26:27], v[10:11]
	v_fma_f64 v[10:11], -v[22:23], v[26:27], 1.0
	v_fmac_f64_e32 v[26:27], v[26:27], v[10:11]
	v_div_scale_f64 v[10:11], vcc, v[14:15], v[6:7], v[14:15]
	v_mul_f64 v[16:17], v[10:11], v[26:27]
	v_fma_f64 v[10:11], -v[22:23], v[16:17], v[10:11]
	s_nop 1
	v_div_fmas_f64 v[10:11], v[10:11], v[26:27], v[16:17]
	v_div_fixup_f64 v[6:7], v[10:11], v[6:7], v[14:15]
	v_add_f64 v[6:7], v[8:9], v[6:7]
	v_fma_f64 v[8:9], -v[0:1], v[0:1], 1.0
	s_waitcnt vmcnt(0)
	v_mul_f64 v[10:11], v[12:13], s[18:19]
	v_mul_f64 v[10:11], v[8:9], v[10:11]
	;; [unrolled: 1-line block ×3, first 2 shown]
	v_fma_f64 v[8:9], v[8:9], v[10:11], -v[12:13]
	v_add_f64 v[6:7], v[6:7], -v[8:9]
	v_fmac_f64_e32 v[0:1], v[2:3], v[6:7]
	v_mad_u64_u32 v[2:3], s[0:1], v29, s4, v[32:33]
	v_mad_u64_u32 v[2:3], s[0:1], v28, s5, v[2:3]
	v_add_co_u32_e32 v2, vcc, v2, v4
	v_addc_co_u32_e32 v3, vcc, v3, v5, vcc
	global_store_dwordx2 v[2:3], v[0:1], off
.LBB1_10:
	s_endpgm
	.section	.rodata,"a",@progbits
	.p2align	6, 0x0
	.amdhsa_kernel _Z9allenCahnPA400_A400_dS1_S1_S1_S1_S1_dddddddd
		.amdhsa_group_segment_fixed_size 0
		.amdhsa_private_segment_fixed_size 0
		.amdhsa_kernarg_size 368
		.amdhsa_user_sgpr_count 6
		.amdhsa_user_sgpr_private_segment_buffer 1
		.amdhsa_user_sgpr_dispatch_ptr 0
		.amdhsa_user_sgpr_queue_ptr 0
		.amdhsa_user_sgpr_kernarg_segment_ptr 1
		.amdhsa_user_sgpr_dispatch_id 0
		.amdhsa_user_sgpr_flat_scratch_init 0
		.amdhsa_user_sgpr_kernarg_preload_length 0
		.amdhsa_user_sgpr_kernarg_preload_offset 0
		.amdhsa_user_sgpr_private_segment_size 0
		.amdhsa_uses_dynamic_stack 0
		.amdhsa_system_sgpr_private_segment_wavefront_offset 0
		.amdhsa_system_sgpr_workgroup_id_x 1
		.amdhsa_system_sgpr_workgroup_id_y 1
		.amdhsa_system_sgpr_workgroup_id_z 1
		.amdhsa_system_sgpr_workgroup_info 0
		.amdhsa_system_vgpr_workitem_id 2
		.amdhsa_next_free_vgpr 46
		.amdhsa_next_free_sgpr 28
		.amdhsa_accum_offset 48
		.amdhsa_reserve_vcc 1
		.amdhsa_reserve_flat_scratch 0
		.amdhsa_float_round_mode_32 0
		.amdhsa_float_round_mode_16_64 0
		.amdhsa_float_denorm_mode_32 3
		.amdhsa_float_denorm_mode_16_64 3
		.amdhsa_dx10_clamp 1
		.amdhsa_ieee_mode 1
		.amdhsa_fp16_overflow 0
		.amdhsa_tg_split 0
		.amdhsa_exception_fp_ieee_invalid_op 0
		.amdhsa_exception_fp_denorm_src 0
		.amdhsa_exception_fp_ieee_div_zero 0
		.amdhsa_exception_fp_ieee_overflow 0
		.amdhsa_exception_fp_ieee_underflow 0
		.amdhsa_exception_fp_ieee_inexact 0
		.amdhsa_exception_int_div_zero 0
	.end_amdhsa_kernel
	.text
.Lfunc_end1:
	.size	_Z9allenCahnPA400_A400_dS1_S1_S1_S1_S1_dddddddd, .Lfunc_end1-_Z9allenCahnPA400_A400_dS1_S1_S1_S1_S1_dddddddd
                                        ; -- End function
	.section	.AMDGPU.csdata,"",@progbits
; Kernel info:
; codeLenInByte = 2008
; NumSgprs: 32
; NumVgprs: 46
; NumAgprs: 0
; TotalNumVgprs: 46
; ScratchSize: 0
; MemoryBound: 0
; FloatMode: 240
; IeeeMode: 1
; LDSByteSize: 0 bytes/workgroup (compile time only)
; SGPRBlocks: 3
; VGPRBlocks: 5
; NumSGPRsForWavesPerEU: 32
; NumVGPRsForWavesPerEU: 46
; AccumOffset: 48
; Occupancy: 8
; WaveLimiterHint : 0
; COMPUTE_PGM_RSRC2:SCRATCH_EN: 0
; COMPUTE_PGM_RSRC2:USER_SGPR: 6
; COMPUTE_PGM_RSRC2:TRAP_HANDLER: 0
; COMPUTE_PGM_RSRC2:TGID_X_EN: 1
; COMPUTE_PGM_RSRC2:TGID_Y_EN: 1
; COMPUTE_PGM_RSRC2:TGID_Z_EN: 1
; COMPUTE_PGM_RSRC2:TIDIG_COMP_CNT: 2
; COMPUTE_PGM_RSRC3_GFX90A:ACCUM_OFFSET: 11
; COMPUTE_PGM_RSRC3_GFX90A:TG_SPLIT: 0
	.text
	.protected	_Z21boundaryConditionsPhiPA400_A400_d ; -- Begin function _Z21boundaryConditionsPhiPA400_A400_d
	.globl	_Z21boundaryConditionsPhiPA400_A400_d
	.p2align	8
	.type	_Z21boundaryConditionsPhiPA400_A400_d,@function
_Z21boundaryConditionsPhiPA400_A400_d:  ; @_Z21boundaryConditionsPhiPA400_A400_d
; %bb.0:
	s_load_dwordx2 s[0:1], s[4:5], 0x14
	v_and_b32_e32 v1, 0x3ff, v0
	s_waitcnt lgkmcnt(0)
	s_lshr_b32 s2, s0, 16
	s_and_b32 s0, s0, 0xffff
	s_and_b32 s1, s1, 0xffff
	s_mul_i32 s6, s6, s0
	v_add_u32_e32 v2, s6, v1
	s_mul_i32 s7, s7, s2
	v_bfe_u32 v1, v0, 10, 10
	s_mul_i32 s8, s8, s1
	v_bfe_u32 v0, v0, 20, 10
	v_add_u32_e32 v4, s7, v1
	v_add_u32_e32 v5, s8, v0
	v_max3_u32 v0, v2, v4, v5
	s_movk_i32 s0, 0x190
	v_cmp_gt_u32_e32 vcc, s0, v0
	s_and_saveexec_b64 s[0:1], vcc
	s_cbranch_execz .LBB2_5
; %bb.1:
	s_load_dwordx2 s[2:3], s[4:5], 0x0
	s_movk_i32 s0, 0x18e
	v_cmp_lt_i32_e32 vcc, s0, v5
	s_mov_b64 s[0:1], 0
                                        ; implicit-def: $vgpr0_vgpr1
	s_and_saveexec_b64 s[4:5], vcc
	s_xor_b64 s[4:5], exec, s[4:5]
	s_cbranch_execnz .LBB2_6
; %bb.2:
	s_andn2_saveexec_b64 s[4:5], s[4:5]
	s_cbranch_execnz .LBB2_7
.LBB2_3:
	s_or_b64 exec, exec, s[4:5]
	s_and_b64 exec, exec, s[0:1]
	s_cbranch_execz .LBB2_5
.LBB2_4:
	v_mov_b32_e32 v2, 0
	v_mov_b32_e32 v3, 0xbff00000
	global_store_dwordx2 v[0:1], v[2:3], off
.LBB2_5:
	s_endpgm
.LBB2_6:
	s_waitcnt lgkmcnt(0)
	s_add_u32 s6, s2, 0x1e70f800
	s_addc_u32 s7, s3, 0
	v_mov_b32_e32 v3, 0
	s_movk_i32 s8, 0xc80
	v_pk_mov_b32 v[0:1], s[6:7], s[6:7] op_sel:[0,1]
	v_mad_u64_u32 v[0:1], s[6:7], v4, s8, v[0:1]
	v_lshlrev_b64 v[2:3], 3, v[2:3]
	v_add_co_u32_e32 v0, vcc, v0, v2
	s_mov_b64 s[0:1], exec
	v_addc_co_u32_e32 v1, vcc, v1, v3, vcc
                                        ; implicit-def: $vgpr2
                                        ; implicit-def: $vgpr4
                                        ; implicit-def: $vgpr5
	s_andn2_saveexec_b64 s[4:5], s[4:5]
	s_cbranch_execz .LBB2_3
.LBB2_7:
	v_cmp_ne_u32_e32 vcc, 0, v5
	s_mov_b64 s[8:9], s[0:1]
                                        ; implicit-def: $vgpr0_vgpr1
	s_and_saveexec_b64 s[6:7], vcc
	s_xor_b64 s[6:7], exec, s[6:7]
	s_cbranch_execz .LBB2_23
; %bb.8:
	s_movk_i32 s8, 0x18e
	v_cmp_lt_i32_e32 vcc, s8, v4
	s_mov_b64 s[8:9], s[0:1]
                                        ; implicit-def: $vgpr0_vgpr1
	s_and_saveexec_b64 s[10:11], vcc
	s_xor_b64 s[10:11], exec, s[10:11]
	s_cbranch_execz .LBB2_10
; %bb.9:
	v_mov_b32_e32 v3, 0
	s_mov_b32 s8, 0x138800
	s_waitcnt lgkmcnt(0)
	v_pk_mov_b32 v[0:1], s[2:3], s[2:3] op_sel:[0,1]
	v_mad_u64_u32 v[0:1], s[8:9], v5, s8, v[0:1]
	v_lshlrev_b64 v[2:3], 3, v[2:3]
	v_add_co_u32_e32 v0, vcc, v0, v2
	v_addc_co_u32_e32 v1, vcc, v1, v3, vcc
	v_add_co_u32_e32 v0, vcc, 0x137b80, v0
	v_addc_co_u32_e32 v1, vcc, 0, v1, vcc
	s_or_b64 s[8:9], s[0:1], exec
                                        ; implicit-def: $vgpr5
                                        ; implicit-def: $vgpr2
                                        ; implicit-def: $vgpr4
.LBB2_10:
	s_andn2_saveexec_b64 s[10:11], s[10:11]
	s_cbranch_execz .LBB2_22
; %bb.11:
	v_cmp_ne_u32_e32 vcc, 0, v4
	s_mov_b64 s[14:15], s[8:9]
                                        ; implicit-def: $vgpr0_vgpr1
	s_and_saveexec_b64 s[12:13], vcc
	s_xor_b64 s[12:13], exec, s[12:13]
	s_cbranch_execz .LBB2_19
; %bb.12:
	s_movk_i32 s14, 0x18e
	v_cmp_lt_i32_e32 vcc, s14, v2
	s_mov_b64 s[14:15], s[8:9]
                                        ; implicit-def: $vgpr0_vgpr1
	s_and_saveexec_b64 s[16:17], vcc
	s_xor_b64 s[16:17], exec, s[16:17]
	s_cbranch_execz .LBB2_14
; %bb.13:
	s_mov_b32 s14, 0x138800
	s_waitcnt lgkmcnt(0)
	v_pk_mov_b32 v[0:1], s[2:3], s[2:3] op_sel:[0,1]
	v_mad_u64_u32 v[0:1], s[14:15], v5, s14, v[0:1]
	s_movk_i32 s14, 0xc80
	v_mad_u64_u32 v[0:1], s[14:15], v4, s14, v[0:1]
	v_add_co_u32_e32 v0, vcc, 0xc78, v0
	v_addc_co_u32_e32 v1, vcc, 0, v1, vcc
	s_or_b64 s[14:15], s[8:9], exec
                                        ; implicit-def: $vgpr2
                                        ; implicit-def: $vgpr5
                                        ; implicit-def: $vgpr4
.LBB2_14:
	s_andn2_saveexec_b64 s[16:17], s[16:17]
	s_cbranch_execz .LBB2_18
; %bb.15:
	v_cmp_eq_u32_e32 vcc, 0, v2
	s_mov_b64 s[18:19], s[14:15]
                                        ; implicit-def: $vgpr0_vgpr1
	s_and_saveexec_b64 s[20:21], vcc
	s_xor_b64 s[20:21], exec, s[20:21]
	s_cbranch_execz .LBB2_17
; %bb.16:
	s_mov_b32 s18, 0x138800
	s_waitcnt lgkmcnt(0)
	v_pk_mov_b32 v[0:1], s[2:3], s[2:3] op_sel:[0,1]
	v_mad_u64_u32 v[0:1], s[18:19], v5, s18, v[0:1]
	s_movk_i32 s18, 0xc80
	v_mad_u64_u32 v[0:1], s[18:19], v4, s18, v[0:1]
	s_or_b64 s[18:19], s[14:15], exec
.LBB2_17:
	s_or_b64 exec, exec, s[20:21]
	s_andn2_b64 s[14:15], s[14:15], exec
	s_and_b64 s[18:19], s[18:19], exec
	s_or_b64 s[14:15], s[14:15], s[18:19]
.LBB2_18:
	s_or_b64 exec, exec, s[16:17]
	s_andn2_b64 s[16:17], s[8:9], exec
	s_and_b64 s[14:15], s[14:15], exec
	s_or_b64 s[14:15], s[16:17], s[14:15]
                                        ; implicit-def: $vgpr5
                                        ; implicit-def: $vgpr2
.LBB2_19:
	s_andn2_saveexec_b64 s[12:13], s[12:13]
	s_cbranch_execz .LBB2_21
; %bb.20:
	s_mov_b32 s16, 0x138800
	s_waitcnt lgkmcnt(0)
	v_pk_mov_b32 v[0:1], s[2:3], s[2:3] op_sel:[0,1]
	v_mov_b32_e32 v3, 0
	v_mad_u64_u32 v[0:1], s[16:17], v5, s16, v[0:1]
	v_lshlrev_b64 v[2:3], 3, v[2:3]
	v_add_co_u32_e32 v0, vcc, v0, v2
	v_addc_co_u32_e32 v1, vcc, v1, v3, vcc
	s_or_b64 s[14:15], s[14:15], exec
.LBB2_21:
	s_or_b64 exec, exec, s[12:13]
	s_andn2_b64 s[8:9], s[8:9], exec
	s_and_b64 s[12:13], s[14:15], exec
	s_or_b64 s[8:9], s[8:9], s[12:13]
.LBB2_22:
	s_or_b64 exec, exec, s[10:11]
	s_andn2_b64 s[10:11], s[0:1], exec
	s_and_b64 s[8:9], s[8:9], exec
	s_or_b64 s[8:9], s[10:11], s[8:9]
                                        ; implicit-def: $vgpr2
                                        ; implicit-def: $vgpr4
.LBB2_23:
	s_andn2_saveexec_b64 s[6:7], s[6:7]
	s_cbranch_execz .LBB2_25
; %bb.24:
	v_mov_b32_e32 v3, 0
	s_movk_i32 s10, 0xc80
	s_waitcnt lgkmcnt(0)
	v_pk_mov_b32 v[0:1], s[2:3], s[2:3] op_sel:[0,1]
	v_mad_u64_u32 v[0:1], s[2:3], v4, s10, v[0:1]
	v_lshlrev_b64 v[2:3], 3, v[2:3]
	v_add_co_u32_e32 v0, vcc, v0, v2
	v_addc_co_u32_e32 v1, vcc, v1, v3, vcc
	s_or_b64 s[8:9], s[8:9], exec
.LBB2_25:
	s_or_b64 exec, exec, s[6:7]
	s_andn2_b64 s[0:1], s[0:1], exec
	s_waitcnt lgkmcnt(0)
	s_and_b64 s[2:3], s[8:9], exec
	s_or_b64 s[0:1], s[0:1], s[2:3]
	s_or_b64 exec, exec, s[4:5]
	s_and_b64 exec, exec, s[0:1]
	s_cbranch_execnz .LBB2_4
	s_branch .LBB2_5
	.section	.rodata,"a",@progbits
	.p2align	6, 0x0
	.amdhsa_kernel _Z21boundaryConditionsPhiPA400_A400_d
		.amdhsa_group_segment_fixed_size 0
		.amdhsa_private_segment_fixed_size 0
		.amdhsa_kernarg_size 264
		.amdhsa_user_sgpr_count 6
		.amdhsa_user_sgpr_private_segment_buffer 1
		.amdhsa_user_sgpr_dispatch_ptr 0
		.amdhsa_user_sgpr_queue_ptr 0
		.amdhsa_user_sgpr_kernarg_segment_ptr 1
		.amdhsa_user_sgpr_dispatch_id 0
		.amdhsa_user_sgpr_flat_scratch_init 0
		.amdhsa_user_sgpr_kernarg_preload_length 0
		.amdhsa_user_sgpr_kernarg_preload_offset 0
		.amdhsa_user_sgpr_private_segment_size 0
		.amdhsa_uses_dynamic_stack 0
		.amdhsa_system_sgpr_private_segment_wavefront_offset 0
		.amdhsa_system_sgpr_workgroup_id_x 1
		.amdhsa_system_sgpr_workgroup_id_y 1
		.amdhsa_system_sgpr_workgroup_id_z 1
		.amdhsa_system_sgpr_workgroup_info 0
		.amdhsa_system_vgpr_workitem_id 2
		.amdhsa_next_free_vgpr 6
		.amdhsa_next_free_sgpr 22
		.amdhsa_accum_offset 8
		.amdhsa_reserve_vcc 1
		.amdhsa_reserve_flat_scratch 0
		.amdhsa_float_round_mode_32 0
		.amdhsa_float_round_mode_16_64 0
		.amdhsa_float_denorm_mode_32 3
		.amdhsa_float_denorm_mode_16_64 3
		.amdhsa_dx10_clamp 1
		.amdhsa_ieee_mode 1
		.amdhsa_fp16_overflow 0
		.amdhsa_tg_split 0
		.amdhsa_exception_fp_ieee_invalid_op 0
		.amdhsa_exception_fp_denorm_src 0
		.amdhsa_exception_fp_ieee_div_zero 0
		.amdhsa_exception_fp_ieee_overflow 0
		.amdhsa_exception_fp_ieee_underflow 0
		.amdhsa_exception_fp_ieee_inexact 0
		.amdhsa_exception_int_div_zero 0
	.end_amdhsa_kernel
	.text
.Lfunc_end2:
	.size	_Z21boundaryConditionsPhiPA400_A400_d, .Lfunc_end2-_Z21boundaryConditionsPhiPA400_A400_d
                                        ; -- End function
	.section	.AMDGPU.csdata,"",@progbits
; Kernel info:
; codeLenInByte = 752
; NumSgprs: 26
; NumVgprs: 6
; NumAgprs: 0
; TotalNumVgprs: 6
; ScratchSize: 0
; MemoryBound: 0
; FloatMode: 240
; IeeeMode: 1
; LDSByteSize: 0 bytes/workgroup (compile time only)
; SGPRBlocks: 3
; VGPRBlocks: 0
; NumSGPRsForWavesPerEU: 26
; NumVGPRsForWavesPerEU: 6
; AccumOffset: 8
; Occupancy: 8
; WaveLimiterHint : 0
; COMPUTE_PGM_RSRC2:SCRATCH_EN: 0
; COMPUTE_PGM_RSRC2:USER_SGPR: 6
; COMPUTE_PGM_RSRC2:TRAP_HANDLER: 0
; COMPUTE_PGM_RSRC2:TGID_X_EN: 1
; COMPUTE_PGM_RSRC2:TGID_Y_EN: 1
; COMPUTE_PGM_RSRC2:TGID_Z_EN: 1
; COMPUTE_PGM_RSRC2:TIDIG_COMP_CNT: 2
; COMPUTE_PGM_RSRC3_GFX90A:ACCUM_OFFSET: 1
; COMPUTE_PGM_RSRC3_GFX90A:TG_SPLIT: 0
	.text
	.protected	_Z15thermalEquationPA400_A400_dS1_S1_S1_ddddd ; -- Begin function _Z15thermalEquationPA400_A400_dS1_S1_S1_ddddd
	.globl	_Z15thermalEquationPA400_A400_dS1_S1_S1_ddddd
	.p2align	8
	.type	_Z15thermalEquationPA400_A400_dS1_S1_S1_ddddd,@function
_Z15thermalEquationPA400_A400_dS1_S1_S1_ddddd: ; @_Z15thermalEquationPA400_A400_dS1_S1_S1_ddddd
; %bb.0:
	s_load_dwordx2 s[0:1], s[4:5], 0x54
	v_and_b32_e32 v1, 0x3ff, v0
	s_waitcnt lgkmcnt(0)
	s_lshr_b32 s2, s0, 16
	s_and_b32 s0, s0, 0xffff
	s_and_b32 s1, s1, 0xffff
	s_mul_i32 s6, s6, s0
	v_add_u32_e32 v2, s6, v1
	s_mul_i32 s7, s7, s2
	v_bfe_u32 v1, v0, 10, 10
	s_mul_i32 s8, s8, s1
	v_bfe_u32 v0, v0, 20, 10
	v_add_u32_e32 v4, s7, v1
	v_add_u32_e32 v5, s8, v0
	v_max3_u32 v0, v2, v4, v5
	s_movk_i32 s0, 0x18f
	v_cmp_gt_u32_e32 vcc, s0, v0
	v_cmp_ne_u32_e64 s[0:1], 0, v5
	v_cmp_ne_u32_e64 s[2:3], 0, v4
	s_and_b64 s[0:1], s[0:1], s[2:3]
	s_and_b64 s[0:1], s[0:1], vcc
	v_cmp_ne_u32_e32 vcc, 0, v2
	s_and_b64 s[0:1], vcc, s[0:1]
	s_and_saveexec_b64 s[2:3], s[0:1]
	s_cbranch_execz .LBB3_2
; %bb.1:
	s_load_dwordx16 s[8:23], s[4:5], 0x0
	s_mov_b32 s6, 0x138800
	v_mov_b32_e32 v3, 0
	s_movk_i32 s7, 0xc80
	s_load_dwordx2 s[2:3], s[4:5], 0x40
	s_waitcnt lgkmcnt(0)
	v_mov_b32_e32 v0, s10
	v_mov_b32_e32 v1, s11
	v_mad_u64_u32 v[10:11], s[0:1], v5, s6, v[0:1]
	v_mov_b32_e32 v6, s12
	v_mov_b32_e32 v7, s13
	v_mad_u64_u32 v[12:13], s[0:1], v4, s7, v[10:11]
	v_lshlrev_b64 v[0:1], 3, v[2:3]
	v_add_co_u32_e32 v14, vcc, v12, v0
	v_mad_u64_u32 v[6:7], s[0:1], v5, s6, v[6:7]
	v_addc_co_u32_e32 v15, vcc, v13, v1, vcc
	v_mad_u64_u32 v[6:7], s[0:1], v4, s7, v[6:7]
	v_add_co_u32_e32 v6, vcc, v6, v0
	v_mov_b32_e32 v8, s14
	v_mov_b32_e32 v9, s15
	v_addc_co_u32_e32 v7, vcc, v7, v1, vcc
	global_load_dwordx2 v[16:17], v[6:7], off
	v_mad_u64_u32 v[6:7], s[0:1], v5, s6, v[8:9]
	v_mad_u64_u32 v[6:7], s[0:1], v4, s7, v[6:7]
	v_add_co_u32_e32 v6, vcc, v6, v0
	v_addc_co_u32_e32 v7, vcc, v7, v1, vcc
	s_mov_b32 s0, 0x138000
	v_add_co_u32_e32 v20, vcc, s0, v14
	v_addc_co_u32_e32 v21, vcc, 0, v15, vcc
	s_mov_b32 s0, 0xffec8000
	global_load_dwordx2 v[18:19], v[6:7], off
	v_add_co_u32_e32 v22, vcc, s0, v14
	global_load_dwordx4 v[6:9], v[14:15], off
	global_load_dwordx2 v[24:25], v[14:15], off offset:3200
	v_add_u32_e32 v14, -1, v4
	v_addc_co_u32_e32 v23, vcc, -1, v15, vcc
	v_mad_u64_u32 v[10:11], s[0:1], v14, s7, v[10:11]
	v_add_co_u32_e32 v10, vcc, v10, v0
	v_addc_co_u32_e32 v11, vcc, v11, v1, vcc
	global_load_dwordx2 v[14:15], v[20:21], off offset:2048
	global_load_dwordx2 v[26:27], v[22:23], off offset:-2048
	global_load_dwordx2 v[28:29], v[10:11], off
	v_add_u32_e32 v2, -1, v2
	v_lshlrev_b64 v[2:3], 3, v[2:3]
	v_add_co_u32_e32 v2, vcc, v12, v2
	v_addc_co_u32_e32 v3, vcc, v13, v3, vcc
	global_load_dwordx2 v[2:3], v[2:3], off
	v_mul_f64 v[20:21], s[20:21], s[20:21]
	v_mul_f64 v[22:23], s[22:23], s[22:23]
	v_mov_b32_e32 v12, s18
	v_mov_b32_e32 v13, s19
	;; [unrolled: 1-line block ×4, first 2 shown]
	v_mul_f64 v[12:13], s[16:17], v[12:13]
	s_waitcnt vmcnt(6)
	v_add_f64 v[16:17], v[16:17], -v[18:19]
	s_waitcnt vmcnt(5)
	v_fma_f64 v[16:17], 0.5, v[16:17], v[6:7]
	s_waitcnt vmcnt(2)
	v_add_f64 v[14:15], v[14:15], v[26:27]
	v_fmac_f64_e32 v[14:15], -2.0, v[6:7]
	s_waitcnt vmcnt(1)
	v_add_f64 v[18:19], v[24:25], v[28:29]
	v_div_scale_f64 v[24:25], s[0:1], v[20:21], v[20:21], v[14:15]
	v_rcp_f64_e32 v[30:31], v[24:25]
	v_fmac_f64_e32 v[18:19], -2.0, v[6:7]
	v_div_scale_f64 v[28:29], s[0:1], v[22:23], v[22:23], v[18:19]
	v_rcp_f64_e32 v[32:33], v[28:29]
	v_fma_f64 v[36:37], -v[24:25], v[30:31], 1.0
	v_fmac_f64_e32 v[30:31], v[30:31], v[36:37]
	v_fma_f64 v[36:37], -v[24:25], v[30:31], 1.0
	v_div_scale_f64 v[26:27], vcc, v[14:15], v[20:21], v[14:15]
	v_fmac_f64_e32 v[30:31], v[30:31], v[36:37]
	v_fma_f64 v[38:39], -v[28:29], v[32:33], 1.0
	v_mul_f64 v[36:37], v[26:27], v[30:31]
	s_waitcnt vmcnt(0)
	v_add_f64 v[2:3], v[8:9], v[2:3]
	v_fmac_f64_e32 v[32:33], v[32:33], v[38:39]
	v_fma_f64 v[24:25], -v[24:25], v[36:37], v[26:27]
	v_fmac_f64_e32 v[2:3], -2.0, v[6:7]
	v_mul_f64 v[6:7], s[2:3], s[2:3]
	v_fma_f64 v[38:39], -v[28:29], v[32:33], 1.0
	v_div_fmas_f64 v[24:25], v[24:25], v[30:31], v[36:37]
	v_div_scale_f64 v[8:9], s[2:3], v[6:7], v[6:7], v[2:3]
	v_div_scale_f64 v[34:35], s[0:1], v[18:19], v[22:23], v[18:19]
	v_fmac_f64_e32 v[32:33], v[32:33], v[38:39]
	v_div_fixup_f64 v[14:15], v[24:25], v[20:21], v[14:15]
	v_rcp_f64_e32 v[20:21], v[8:9]
	v_mul_f64 v[38:39], v[34:35], v[32:33]
	v_fma_f64 v[26:27], -v[28:29], v[38:39], v[34:35]
	s_mov_b64 vcc, s[0:1]
	v_div_fmas_f64 v[24:25], v[26:27], v[32:33], v[38:39]
	v_div_fixup_f64 v[18:19], v[24:25], v[22:23], v[18:19]
	v_fma_f64 v[22:23], -v[8:9], v[20:21], 1.0
	v_fmac_f64_e32 v[20:21], v[20:21], v[22:23]
	v_fma_f64 v[22:23], -v[8:9], v[20:21], 1.0
	v_fmac_f64_e32 v[20:21], v[20:21], v[22:23]
	v_div_scale_f64 v[22:23], vcc, v[2:3], v[6:7], v[2:3]
	v_mul_f64 v[24:25], v[22:23], v[20:21]
	v_fma_f64 v[8:9], -v[8:9], v[24:25], v[22:23]
	s_nop 1
	v_div_fmas_f64 v[8:9], v[8:9], v[20:21], v[24:25]
	v_div_fixup_f64 v[2:3], v[8:9], v[6:7], v[2:3]
	v_add_f64 v[6:7], v[14:15], v[18:19]
	v_add_f64 v[2:3], v[6:7], v[2:3]
	v_fmac_f64_e32 v[16:17], v[12:13], v[2:3]
	v_mad_u64_u32 v[2:3], s[0:1], v5, s6, v[10:11]
	v_mad_u64_u32 v[2:3], s[0:1], v4, s7, v[2:3]
	v_add_co_u32_e32 v0, vcc, v2, v0
	v_addc_co_u32_e32 v1, vcc, v3, v1, vcc
	global_store_dwordx2 v[0:1], v[16:17], off
.LBB3_2:
	s_endpgm
	.section	.rodata,"a",@progbits
	.p2align	6, 0x0
	.amdhsa_kernel _Z15thermalEquationPA400_A400_dS1_S1_S1_ddddd
		.amdhsa_group_segment_fixed_size 0
		.amdhsa_private_segment_fixed_size 0
		.amdhsa_kernarg_size 328
		.amdhsa_user_sgpr_count 6
		.amdhsa_user_sgpr_private_segment_buffer 1
		.amdhsa_user_sgpr_dispatch_ptr 0
		.amdhsa_user_sgpr_queue_ptr 0
		.amdhsa_user_sgpr_kernarg_segment_ptr 1
		.amdhsa_user_sgpr_dispatch_id 0
		.amdhsa_user_sgpr_flat_scratch_init 0
		.amdhsa_user_sgpr_kernarg_preload_length 0
		.amdhsa_user_sgpr_kernarg_preload_offset 0
		.amdhsa_user_sgpr_private_segment_size 0
		.amdhsa_uses_dynamic_stack 0
		.amdhsa_system_sgpr_private_segment_wavefront_offset 0
		.amdhsa_system_sgpr_workgroup_id_x 1
		.amdhsa_system_sgpr_workgroup_id_y 1
		.amdhsa_system_sgpr_workgroup_id_z 1
		.amdhsa_system_sgpr_workgroup_info 0
		.amdhsa_system_vgpr_workitem_id 2
		.amdhsa_next_free_vgpr 40
		.amdhsa_next_free_sgpr 24
		.amdhsa_accum_offset 40
		.amdhsa_reserve_vcc 1
		.amdhsa_reserve_flat_scratch 0
		.amdhsa_float_round_mode_32 0
		.amdhsa_float_round_mode_16_64 0
		.amdhsa_float_denorm_mode_32 3
		.amdhsa_float_denorm_mode_16_64 3
		.amdhsa_dx10_clamp 1
		.amdhsa_ieee_mode 1
		.amdhsa_fp16_overflow 0
		.amdhsa_tg_split 0
		.amdhsa_exception_fp_ieee_invalid_op 0
		.amdhsa_exception_fp_denorm_src 0
		.amdhsa_exception_fp_ieee_div_zero 0
		.amdhsa_exception_fp_ieee_overflow 0
		.amdhsa_exception_fp_ieee_underflow 0
		.amdhsa_exception_fp_ieee_inexact 0
		.amdhsa_exception_int_div_zero 0
	.end_amdhsa_kernel
	.text
.Lfunc_end3:
	.size	_Z15thermalEquationPA400_A400_dS1_S1_S1_ddddd, .Lfunc_end3-_Z15thermalEquationPA400_A400_dS1_S1_S1_ddddd
                                        ; -- End function
	.section	.AMDGPU.csdata,"",@progbits
; Kernel info:
; codeLenInByte = 824
; NumSgprs: 28
; NumVgprs: 40
; NumAgprs: 0
; TotalNumVgprs: 40
; ScratchSize: 0
; MemoryBound: 0
; FloatMode: 240
; IeeeMode: 1
; LDSByteSize: 0 bytes/workgroup (compile time only)
; SGPRBlocks: 3
; VGPRBlocks: 4
; NumSGPRsForWavesPerEU: 28
; NumVGPRsForWavesPerEU: 40
; AccumOffset: 40
; Occupancy: 8
; WaveLimiterHint : 0
; COMPUTE_PGM_RSRC2:SCRATCH_EN: 0
; COMPUTE_PGM_RSRC2:USER_SGPR: 6
; COMPUTE_PGM_RSRC2:TRAP_HANDLER: 0
; COMPUTE_PGM_RSRC2:TGID_X_EN: 1
; COMPUTE_PGM_RSRC2:TGID_Y_EN: 1
; COMPUTE_PGM_RSRC2:TGID_Z_EN: 1
; COMPUTE_PGM_RSRC2:TIDIG_COMP_CNT: 2
; COMPUTE_PGM_RSRC3_GFX90A:ACCUM_OFFSET: 9
; COMPUTE_PGM_RSRC3_GFX90A:TG_SPLIT: 0
	.text
	.protected	_Z19boundaryConditionsUPA400_A400_dd ; -- Begin function _Z19boundaryConditionsUPA400_A400_dd
	.globl	_Z19boundaryConditionsUPA400_A400_dd
	.p2align	8
	.type	_Z19boundaryConditionsUPA400_A400_dd,@function
_Z19boundaryConditionsUPA400_A400_dd:   ; @_Z19boundaryConditionsUPA400_A400_dd
; %bb.0:
	s_load_dwordx2 s[0:1], s[4:5], 0x1c
	v_and_b32_e32 v1, 0x3ff, v0
	s_waitcnt lgkmcnt(0)
	s_lshr_b32 s2, s0, 16
	s_and_b32 s0, s0, 0xffff
	s_and_b32 s1, s1, 0xffff
	s_mul_i32 s6, s6, s0
	v_add_u32_e32 v2, s6, v1
	s_mul_i32 s7, s7, s2
	v_bfe_u32 v1, v0, 10, 10
	s_mul_i32 s8, s8, s1
	v_bfe_u32 v0, v0, 20, 10
	v_add_u32_e32 v1, s7, v1
	v_add_u32_e32 v0, s8, v0
	v_max3_u32 v3, v2, v1, v0
	s_movk_i32 s0, 0x190
	v_cmp_gt_u32_e32 vcc, s0, v3
	s_and_saveexec_b64 s[0:1], vcc
	s_cbranch_execz .LBB4_22
; %bb.1:
	s_load_dwordx4 s[0:3], s[4:5], 0x0
	s_movk_i32 s4, 0x18e
	v_cmp_lt_i32_e32 vcc, s4, v0
	s_and_saveexec_b64 s[4:5], vcc
	s_xor_b64 s[4:5], exec, s[4:5]
	s_cbranch_execz .LBB4_3
; %bb.2:
	s_waitcnt lgkmcnt(0)
	s_xor_b32 s6, s3, 0x80000000
	v_mov_b32_e32 v5, s6
	s_add_u32 s6, s0, 0x1e70f800
	s_addc_u32 s7, s1, 0
	v_mov_b32_e32 v3, 0
	s_movk_i32 s8, 0xc80
	v_pk_mov_b32 v[6:7], s[6:7], s[6:7] op_sel:[0,1]
	v_mad_u64_u32 v[0:1], s[6:7], v1, s8, v[6:7]
	v_lshlrev_b64 v[2:3], 3, v[2:3]
	v_add_co_u32_e32 v0, vcc, v0, v2
	v_mov_b32_e32 v4, s2
	v_addc_co_u32_e32 v1, vcc, v1, v3, vcc
	global_store_dwordx2 v[0:1], v[4:5], off
                                        ; implicit-def: $vgpr2
                                        ; implicit-def: $vgpr1
                                        ; implicit-def: $vgpr0
.LBB4_3:
	s_andn2_saveexec_b64 s[4:5], s[4:5]
	s_cbranch_execz .LBB4_22
; %bb.4:
	v_cmp_ne_u32_e32 vcc, 0, v0
	s_and_saveexec_b64 s[4:5], vcc
	s_xor_b64 s[4:5], exec, s[4:5]
	s_cbranch_execz .LBB4_20
; %bb.5:
	s_movk_i32 s6, 0x18e
	v_cmp_lt_i32_e32 vcc, s6, v1
	s_and_saveexec_b64 s[6:7], vcc
	s_xor_b64 s[6:7], exec, s[6:7]
	s_cbranch_execz .LBB4_7
; %bb.6:
	s_waitcnt lgkmcnt(0)
	s_xor_b32 s8, s3, 0x80000000
	v_mov_b32_e32 v5, s8
	v_mov_b32_e32 v3, 0
	s_mov_b32 s8, 0x138800
	v_pk_mov_b32 v[6:7], s[0:1], s[0:1] op_sel:[0,1]
	v_mad_u64_u32 v[0:1], s[8:9], v0, s8, v[6:7]
	v_lshlrev_b64 v[2:3], 3, v[2:3]
	v_add_co_u32_e32 v0, vcc, v0, v2
	v_addc_co_u32_e32 v1, vcc, v1, v3, vcc
	v_add_co_u32_e32 v0, vcc, 0x137000, v0
	v_mov_b32_e32 v4, s2
	v_addc_co_u32_e32 v1, vcc, 0, v1, vcc
	global_store_dwordx2 v[0:1], v[4:5], off offset:2944
                                        ; implicit-def: $vgpr0
                                        ; implicit-def: $vgpr2
                                        ; implicit-def: $vgpr1
.LBB4_7:
	s_andn2_saveexec_b64 s[6:7], s[6:7]
	s_cbranch_execz .LBB4_19
; %bb.8:
	v_cmp_ne_u32_e32 vcc, 0, v1
	s_and_saveexec_b64 s[8:9], vcc
	s_xor_b64 s[8:9], exec, s[8:9]
	s_cbranch_execz .LBB4_16
; %bb.9:
	s_movk_i32 s10, 0x18e
	v_cmp_lt_i32_e32 vcc, s10, v2
	s_and_saveexec_b64 s[10:11], vcc
	s_xor_b64 s[10:11], exec, s[10:11]
	s_cbranch_execz .LBB4_11
; %bb.10:
	s_waitcnt lgkmcnt(0)
	s_xor_b32 s12, s3, 0x80000000
	v_mov_b32_e32 v3, s12
	s_mov_b32 s12, 0x138800
	v_pk_mov_b32 v[4:5], s[0:1], s[0:1] op_sel:[0,1]
	v_mad_u64_u32 v[4:5], s[12:13], v0, s12, v[4:5]
	s_movk_i32 s12, 0xc80
	v_mov_b32_e32 v2, s2
	v_mad_u64_u32 v[0:1], s[12:13], v1, s12, v[4:5]
	global_store_dwordx2 v[0:1], v[2:3], off offset:3192
                                        ; implicit-def: $vgpr2
                                        ; implicit-def: $vgpr0
                                        ; implicit-def: $vgpr1
.LBB4_11:
	s_andn2_saveexec_b64 s[10:11], s[10:11]
	s_cbranch_execz .LBB4_15
; %bb.12:
	v_cmp_eq_u32_e32 vcc, 0, v2
	s_and_saveexec_b64 s[12:13], vcc
	s_cbranch_execz .LBB4_14
; %bb.13:
	s_waitcnt lgkmcnt(0)
	s_xor_b32 s14, s3, 0x80000000
	v_mov_b32_e32 v3, s14
	s_mov_b32 s14, 0x138800
	v_pk_mov_b32 v[4:5], s[0:1], s[0:1] op_sel:[0,1]
	v_mad_u64_u32 v[4:5], s[14:15], v0, s14, v[4:5]
	s_movk_i32 s14, 0xc80
	v_mov_b32_e32 v2, s2
	v_mad_u64_u32 v[0:1], s[14:15], v1, s14, v[4:5]
	global_store_dwordx2 v[0:1], v[2:3], off
.LBB4_14:
	s_or_b64 exec, exec, s[12:13]
.LBB4_15:
	s_or_b64 exec, exec, s[10:11]
                                        ; implicit-def: $vgpr0
                                        ; implicit-def: $vgpr2
.LBB4_16:
	s_andn2_saveexec_b64 s[8:9], s[8:9]
	s_cbranch_execz .LBB4_18
; %bb.17:
	s_waitcnt lgkmcnt(0)
	s_xor_b32 s10, s3, 0x80000000
	v_mov_b32_e32 v5, s10
	s_mov_b32 s10, 0x138800
	v_pk_mov_b32 v[6:7], s[0:1], s[0:1] op_sel:[0,1]
	v_mov_b32_e32 v3, 0
	v_mad_u64_u32 v[0:1], s[10:11], v0, s10, v[6:7]
	v_lshlrev_b64 v[2:3], 3, v[2:3]
	v_add_co_u32_e32 v0, vcc, v0, v2
	v_mov_b32_e32 v4, s2
	v_addc_co_u32_e32 v1, vcc, v1, v3, vcc
	global_store_dwordx2 v[0:1], v[4:5], off
.LBB4_18:
	s_or_b64 exec, exec, s[8:9]
.LBB4_19:
	s_or_b64 exec, exec, s[6:7]
                                        ; implicit-def: $vgpr2
                                        ; implicit-def: $vgpr1
.LBB4_20:
	s_andn2_saveexec_b64 s[4:5], s[4:5]
	s_cbranch_execz .LBB4_22
; %bb.21:
	s_waitcnt lgkmcnt(0)
	v_mov_b32_e32 v4, s2
	v_mov_b32_e32 v3, 0
	s_movk_i32 s2, 0xc80
	v_pk_mov_b32 v[6:7], s[0:1], s[0:1] op_sel:[0,1]
	v_mad_u64_u32 v[0:1], s[0:1], v1, s2, v[6:7]
	v_lshlrev_b64 v[2:3], 3, v[2:3]
	s_xor_b32 s3, s3, 0x80000000
	v_add_co_u32_e32 v0, vcc, v0, v2
	v_mov_b32_e32 v5, s3
	v_addc_co_u32_e32 v1, vcc, v1, v3, vcc
	global_store_dwordx2 v[0:1], v[4:5], off
.LBB4_22:
	s_endpgm
	.section	.rodata,"a",@progbits
	.p2align	6, 0x0
	.amdhsa_kernel _Z19boundaryConditionsUPA400_A400_dd
		.amdhsa_group_segment_fixed_size 0
		.amdhsa_private_segment_fixed_size 0
		.amdhsa_kernarg_size 272
		.amdhsa_user_sgpr_count 6
		.amdhsa_user_sgpr_private_segment_buffer 1
		.amdhsa_user_sgpr_dispatch_ptr 0
		.amdhsa_user_sgpr_queue_ptr 0
		.amdhsa_user_sgpr_kernarg_segment_ptr 1
		.amdhsa_user_sgpr_dispatch_id 0
		.amdhsa_user_sgpr_flat_scratch_init 0
		.amdhsa_user_sgpr_kernarg_preload_length 0
		.amdhsa_user_sgpr_kernarg_preload_offset 0
		.amdhsa_user_sgpr_private_segment_size 0
		.amdhsa_uses_dynamic_stack 0
		.amdhsa_system_sgpr_private_segment_wavefront_offset 0
		.amdhsa_system_sgpr_workgroup_id_x 1
		.amdhsa_system_sgpr_workgroup_id_y 1
		.amdhsa_system_sgpr_workgroup_id_z 1
		.amdhsa_system_sgpr_workgroup_info 0
		.amdhsa_system_vgpr_workitem_id 2
		.amdhsa_next_free_vgpr 8
		.amdhsa_next_free_sgpr 16
		.amdhsa_accum_offset 8
		.amdhsa_reserve_vcc 1
		.amdhsa_reserve_flat_scratch 0
		.amdhsa_float_round_mode_32 0
		.amdhsa_float_round_mode_16_64 0
		.amdhsa_float_denorm_mode_32 3
		.amdhsa_float_denorm_mode_16_64 3
		.amdhsa_dx10_clamp 1
		.amdhsa_ieee_mode 1
		.amdhsa_fp16_overflow 0
		.amdhsa_tg_split 0
		.amdhsa_exception_fp_ieee_invalid_op 0
		.amdhsa_exception_fp_denorm_src 0
		.amdhsa_exception_fp_ieee_div_zero 0
		.amdhsa_exception_fp_ieee_overflow 0
		.amdhsa_exception_fp_ieee_underflow 0
		.amdhsa_exception_fp_ieee_inexact 0
		.amdhsa_exception_int_div_zero 0
	.end_amdhsa_kernel
	.text
.Lfunc_end4:
	.size	_Z19boundaryConditionsUPA400_A400_dd, .Lfunc_end4-_Z19boundaryConditionsUPA400_A400_dd
                                        ; -- End function
	.section	.AMDGPU.csdata,"",@progbits
; Kernel info:
; codeLenInByte = 708
; NumSgprs: 20
; NumVgprs: 8
; NumAgprs: 0
; TotalNumVgprs: 8
; ScratchSize: 0
; MemoryBound: 0
; FloatMode: 240
; IeeeMode: 1
; LDSByteSize: 0 bytes/workgroup (compile time only)
; SGPRBlocks: 2
; VGPRBlocks: 0
; NumSGPRsForWavesPerEU: 20
; NumVGPRsForWavesPerEU: 8
; AccumOffset: 8
; Occupancy: 8
; WaveLimiterHint : 0
; COMPUTE_PGM_RSRC2:SCRATCH_EN: 0
; COMPUTE_PGM_RSRC2:USER_SGPR: 6
; COMPUTE_PGM_RSRC2:TRAP_HANDLER: 0
; COMPUTE_PGM_RSRC2:TGID_X_EN: 1
; COMPUTE_PGM_RSRC2:TGID_Y_EN: 1
; COMPUTE_PGM_RSRC2:TGID_Z_EN: 1
; COMPUTE_PGM_RSRC2:TIDIG_COMP_CNT: 2
; COMPUTE_PGM_RSRC3_GFX90A:ACCUM_OFFSET: 1
; COMPUTE_PGM_RSRC3_GFX90A:TG_SPLIT: 0
	.text
	.protected	_Z8swapGridPA400_A400_dS1_ ; -- Begin function _Z8swapGridPA400_A400_dS1_
	.globl	_Z8swapGridPA400_A400_dS1_
	.p2align	8
	.type	_Z8swapGridPA400_A400_dS1_,@function
_Z8swapGridPA400_A400_dS1_:             ; @_Z8swapGridPA400_A400_dS1_
; %bb.0:
	s_load_dwordx2 s[0:1], s[4:5], 0x1c
	v_and_b32_e32 v1, 0x3ff, v0
	s_waitcnt lgkmcnt(0)
	s_lshr_b32 s2, s0, 16
	s_and_b32 s0, s0, 0xffff
	s_and_b32 s1, s1, 0xffff
	s_mul_i32 s6, s6, s0
	v_add_u32_e32 v2, s6, v1
	s_mul_i32 s7, s7, s2
	v_bfe_u32 v1, v0, 10, 10
	s_mul_i32 s8, s8, s1
	v_bfe_u32 v0, v0, 20, 10
	v_add_u32_e32 v1, s7, v1
	v_add_u32_e32 v0, s8, v0
	v_max3_u32 v3, v2, v1, v0
	s_movk_i32 s0, 0x190
	v_cmp_gt_u32_e32 vcc, s0, v3
	s_and_saveexec_b64 s[0:1], vcc
	s_cbranch_execz .LBB5_2
; %bb.1:
	s_load_dwordx4 s[0:3], s[4:5], 0x0
	v_mov_b32_e32 v3, 0
	v_lshlrev_b64 v[2:3], 3, v[2:3]
	s_waitcnt lgkmcnt(0)
	v_mov_b32_e32 v6, s2
	v_mov_b32_e32 v7, s3
	s_mov_b32 s2, 0x138800
	v_mov_b32_e32 v4, s0
	v_mov_b32_e32 v5, s1
	v_mad_u64_u32 v[6:7], s[0:1], v0, s2, v[6:7]
	s_movk_i32 s3, 0xc80
	v_mad_u64_u32 v[6:7], s[0:1], v1, s3, v[6:7]
	v_add_co_u32_e32 v6, vcc, v6, v2
	v_mad_u64_u32 v[4:5], s[0:1], v0, s2, v[4:5]
	v_addc_co_u32_e32 v7, vcc, v7, v3, vcc
	v_mad_u64_u32 v[0:1], s[0:1], v1, s3, v[4:5]
	v_add_co_u32_e32 v0, vcc, v0, v2
	v_addc_co_u32_e32 v1, vcc, v1, v3, vcc
	global_load_dwordx2 v[2:3], v[6:7], off
	global_load_dwordx2 v[4:5], v[0:1], off
	s_waitcnt vmcnt(1)
	global_store_dwordx2 v[0:1], v[2:3], off
	s_waitcnt vmcnt(1)
	global_store_dwordx2 v[6:7], v[4:5], off
.LBB5_2:
	s_endpgm
	.section	.rodata,"a",@progbits
	.p2align	6, 0x0
	.amdhsa_kernel _Z8swapGridPA400_A400_dS1_
		.amdhsa_group_segment_fixed_size 0
		.amdhsa_private_segment_fixed_size 0
		.amdhsa_kernarg_size 272
		.amdhsa_user_sgpr_count 6
		.amdhsa_user_sgpr_private_segment_buffer 1
		.amdhsa_user_sgpr_dispatch_ptr 0
		.amdhsa_user_sgpr_queue_ptr 0
		.amdhsa_user_sgpr_kernarg_segment_ptr 1
		.amdhsa_user_sgpr_dispatch_id 0
		.amdhsa_user_sgpr_flat_scratch_init 0
		.amdhsa_user_sgpr_kernarg_preload_length 0
		.amdhsa_user_sgpr_kernarg_preload_offset 0
		.amdhsa_user_sgpr_private_segment_size 0
		.amdhsa_uses_dynamic_stack 0
		.amdhsa_system_sgpr_private_segment_wavefront_offset 0
		.amdhsa_system_sgpr_workgroup_id_x 1
		.amdhsa_system_sgpr_workgroup_id_y 1
		.amdhsa_system_sgpr_workgroup_id_z 1
		.amdhsa_system_sgpr_workgroup_info 0
		.amdhsa_system_vgpr_workitem_id 2
		.amdhsa_next_free_vgpr 8
		.amdhsa_next_free_sgpr 9
		.amdhsa_accum_offset 8
		.amdhsa_reserve_vcc 1
		.amdhsa_reserve_flat_scratch 0
		.amdhsa_float_round_mode_32 0
		.amdhsa_float_round_mode_16_64 0
		.amdhsa_float_denorm_mode_32 3
		.amdhsa_float_denorm_mode_16_64 3
		.amdhsa_dx10_clamp 1
		.amdhsa_ieee_mode 1
		.amdhsa_fp16_overflow 0
		.amdhsa_tg_split 0
		.amdhsa_exception_fp_ieee_invalid_op 0
		.amdhsa_exception_fp_denorm_src 0
		.amdhsa_exception_fp_ieee_div_zero 0
		.amdhsa_exception_fp_ieee_overflow 0
		.amdhsa_exception_fp_ieee_underflow 0
		.amdhsa_exception_fp_ieee_inexact 0
		.amdhsa_exception_int_div_zero 0
	.end_amdhsa_kernel
	.text
.Lfunc_end5:
	.size	_Z8swapGridPA400_A400_dS1_, .Lfunc_end5-_Z8swapGridPA400_A400_dS1_
                                        ; -- End function
	.section	.AMDGPU.csdata,"",@progbits
; Kernel info:
; codeLenInByte = 248
; NumSgprs: 13
; NumVgprs: 8
; NumAgprs: 0
; TotalNumVgprs: 8
; ScratchSize: 0
; MemoryBound: 0
; FloatMode: 240
; IeeeMode: 1
; LDSByteSize: 0 bytes/workgroup (compile time only)
; SGPRBlocks: 1
; VGPRBlocks: 0
; NumSGPRsForWavesPerEU: 13
; NumVGPRsForWavesPerEU: 8
; AccumOffset: 8
; Occupancy: 8
; WaveLimiterHint : 0
; COMPUTE_PGM_RSRC2:SCRATCH_EN: 0
; COMPUTE_PGM_RSRC2:USER_SGPR: 6
; COMPUTE_PGM_RSRC2:TRAP_HANDLER: 0
; COMPUTE_PGM_RSRC2:TGID_X_EN: 1
; COMPUTE_PGM_RSRC2:TGID_Y_EN: 1
; COMPUTE_PGM_RSRC2:TGID_Z_EN: 1
; COMPUTE_PGM_RSRC2:TIDIG_COMP_CNT: 2
; COMPUTE_PGM_RSRC3_GFX90A:ACCUM_OFFSET: 1
; COMPUTE_PGM_RSRC3_GFX90A:TG_SPLIT: 0
	.text
	.p2alignl 6, 3212836864
	.fill 256, 4, 3212836864
	.type	__hip_cuid_2d6e474f73610142,@object ; @__hip_cuid_2d6e474f73610142
	.section	.bss,"aw",@nobits
	.globl	__hip_cuid_2d6e474f73610142
__hip_cuid_2d6e474f73610142:
	.byte	0                               ; 0x0
	.size	__hip_cuid_2d6e474f73610142, 1

	.ident	"AMD clang version 19.0.0git (https://github.com/RadeonOpenCompute/llvm-project roc-6.4.0 25133 c7fe45cf4b819c5991fe208aaa96edf142730f1d)"
	.section	".note.GNU-stack","",@progbits
	.addrsig
	.addrsig_sym __hip_cuid_2d6e474f73610142
	.amdgpu_metadata
---
amdhsa.kernels:
  - .agpr_count:     0
    .args:
      - .address_space:  global
        .offset:         0
        .size:           8
        .value_kind:     global_buffer
      - .address_space:  global
        .offset:         8
        .size:           8
        .value_kind:     global_buffer
      - .address_space:  global
        .offset:         16
        .size:           8
        .value_kind:     global_buffer
      - .address_space:  global
        .offset:         24
        .size:           8
        .value_kind:     global_buffer
      - .offset:         32
        .size:           8
        .value_kind:     by_value
      - .offset:         40
        .size:           8
        .value_kind:     by_value
      - .offset:         48
        .size:           8
        .value_kind:     by_value
      - .offset:         56
        .size:           8
        .value_kind:     by_value
      - .offset:         64
        .size:           8
        .value_kind:     by_value
      - .offset:         72
        .size:           8
        .value_kind:     by_value
      - .offset:         80
        .size:           4
        .value_kind:     hidden_block_count_x
      - .offset:         84
        .size:           4
        .value_kind:     hidden_block_count_y
      - .offset:         88
        .size:           4
        .value_kind:     hidden_block_count_z
      - .offset:         92
        .size:           2
        .value_kind:     hidden_group_size_x
      - .offset:         94
        .size:           2
        .value_kind:     hidden_group_size_y
      - .offset:         96
        .size:           2
        .value_kind:     hidden_group_size_z
      - .offset:         98
        .size:           2
        .value_kind:     hidden_remainder_x
      - .offset:         100
        .size:           2
        .value_kind:     hidden_remainder_y
      - .offset:         102
        .size:           2
        .value_kind:     hidden_remainder_z
      - .offset:         120
        .size:           8
        .value_kind:     hidden_global_offset_x
      - .offset:         128
        .size:           8
        .value_kind:     hidden_global_offset_y
      - .offset:         136
        .size:           8
        .value_kind:     hidden_global_offset_z
      - .offset:         144
        .size:           2
        .value_kind:     hidden_grid_dims
    .group_segment_fixed_size: 0
    .kernarg_segment_align: 8
    .kernarg_segment_size: 336
    .language:       OpenCL C
    .language_version:
      - 2
      - 0
    .max_flat_workgroup_size: 1024
    .name:           _Z14calculateForcePA400_A400_dS1_S1_S1_dddddd
    .private_segment_fixed_size: 0
    .sgpr_count:     32
    .sgpr_spill_count: 0
    .symbol:         _Z14calculateForcePA400_A400_dS1_S1_S1_dddddd.kd
    .uniform_work_group_size: 1
    .uses_dynamic_stack: false
    .vgpr_count:     42
    .vgpr_spill_count: 0
    .wavefront_size: 64
  - .agpr_count:     0
    .args:
      - .address_space:  global
        .offset:         0
        .size:           8
        .value_kind:     global_buffer
      - .address_space:  global
        .offset:         8
        .size:           8
        .value_kind:     global_buffer
      - .address_space:  global
        .offset:         16
        .size:           8
        .value_kind:     global_buffer
      - .address_space:  global
        .offset:         24
        .size:           8
        .value_kind:     global_buffer
      - .address_space:  global
        .offset:         32
        .size:           8
        .value_kind:     global_buffer
      - .address_space:  global
        .offset:         40
        .size:           8
        .value_kind:     global_buffer
      - .offset:         48
        .size:           8
        .value_kind:     by_value
      - .offset:         56
        .size:           8
        .value_kind:     by_value
      - .offset:         64
        .size:           8
        .value_kind:     by_value
      - .offset:         72
        .size:           8
        .value_kind:     by_value
      - .offset:         80
        .size:           8
        .value_kind:     by_value
      - .offset:         88
        .size:           8
        .value_kind:     by_value
      - .offset:         96
        .size:           8
        .value_kind:     by_value
      - .offset:         104
        .size:           8
        .value_kind:     by_value
      - .offset:         112
        .size:           4
        .value_kind:     hidden_block_count_x
      - .offset:         116
        .size:           4
        .value_kind:     hidden_block_count_y
      - .offset:         120
        .size:           4
        .value_kind:     hidden_block_count_z
      - .offset:         124
        .size:           2
        .value_kind:     hidden_group_size_x
      - .offset:         126
        .size:           2
        .value_kind:     hidden_group_size_y
      - .offset:         128
        .size:           2
        .value_kind:     hidden_group_size_z
      - .offset:         130
        .size:           2
        .value_kind:     hidden_remainder_x
      - .offset:         132
        .size:           2
        .value_kind:     hidden_remainder_y
      - .offset:         134
        .size:           2
        .value_kind:     hidden_remainder_z
      - .offset:         152
        .size:           8
        .value_kind:     hidden_global_offset_x
      - .offset:         160
        .size:           8
        .value_kind:     hidden_global_offset_y
      - .offset:         168
        .size:           8
        .value_kind:     hidden_global_offset_z
      - .offset:         176
        .size:           2
        .value_kind:     hidden_grid_dims
    .group_segment_fixed_size: 0
    .kernarg_segment_align: 8
    .kernarg_segment_size: 368
    .language:       OpenCL C
    .language_version:
      - 2
      - 0
    .max_flat_workgroup_size: 1024
    .name:           _Z9allenCahnPA400_A400_dS1_S1_S1_S1_S1_dddddddd
    .private_segment_fixed_size: 0
    .sgpr_count:     32
    .sgpr_spill_count: 0
    .symbol:         _Z9allenCahnPA400_A400_dS1_S1_S1_S1_S1_dddddddd.kd
    .uniform_work_group_size: 1
    .uses_dynamic_stack: false
    .vgpr_count:     46
    .vgpr_spill_count: 0
    .wavefront_size: 64
  - .agpr_count:     0
    .args:
      - .address_space:  global
        .offset:         0
        .size:           8
        .value_kind:     global_buffer
      - .offset:         8
        .size:           4
        .value_kind:     hidden_block_count_x
      - .offset:         12
        .size:           4
        .value_kind:     hidden_block_count_y
      - .offset:         16
        .size:           4
        .value_kind:     hidden_block_count_z
      - .offset:         20
        .size:           2
        .value_kind:     hidden_group_size_x
      - .offset:         22
        .size:           2
        .value_kind:     hidden_group_size_y
      - .offset:         24
        .size:           2
        .value_kind:     hidden_group_size_z
      - .offset:         26
        .size:           2
        .value_kind:     hidden_remainder_x
      - .offset:         28
        .size:           2
        .value_kind:     hidden_remainder_y
      - .offset:         30
        .size:           2
        .value_kind:     hidden_remainder_z
      - .offset:         48
        .size:           8
        .value_kind:     hidden_global_offset_x
      - .offset:         56
        .size:           8
        .value_kind:     hidden_global_offset_y
      - .offset:         64
        .size:           8
        .value_kind:     hidden_global_offset_z
      - .offset:         72
        .size:           2
        .value_kind:     hidden_grid_dims
    .group_segment_fixed_size: 0
    .kernarg_segment_align: 8
    .kernarg_segment_size: 264
    .language:       OpenCL C
    .language_version:
      - 2
      - 0
    .max_flat_workgroup_size: 1024
    .name:           _Z21boundaryConditionsPhiPA400_A400_d
    .private_segment_fixed_size: 0
    .sgpr_count:     26
    .sgpr_spill_count: 0
    .symbol:         _Z21boundaryConditionsPhiPA400_A400_d.kd
    .uniform_work_group_size: 1
    .uses_dynamic_stack: false
    .vgpr_count:     6
    .vgpr_spill_count: 0
    .wavefront_size: 64
  - .agpr_count:     0
    .args:
      - .address_space:  global
        .offset:         0
        .size:           8
        .value_kind:     global_buffer
      - .address_space:  global
        .offset:         8
        .size:           8
        .value_kind:     global_buffer
      - .address_space:  global
        .offset:         16
        .size:           8
        .value_kind:     global_buffer
      - .address_space:  global
        .offset:         24
        .size:           8
        .value_kind:     global_buffer
      - .offset:         32
        .size:           8
        .value_kind:     by_value
      - .offset:         40
        .size:           8
        .value_kind:     by_value
      - .offset:         48
        .size:           8
        .value_kind:     by_value
      - .offset:         56
        .size:           8
        .value_kind:     by_value
      - .offset:         64
        .size:           8
        .value_kind:     by_value
      - .offset:         72
        .size:           4
        .value_kind:     hidden_block_count_x
      - .offset:         76
        .size:           4
        .value_kind:     hidden_block_count_y
      - .offset:         80
        .size:           4
        .value_kind:     hidden_block_count_z
      - .offset:         84
        .size:           2
        .value_kind:     hidden_group_size_x
      - .offset:         86
        .size:           2
        .value_kind:     hidden_group_size_y
      - .offset:         88
        .size:           2
        .value_kind:     hidden_group_size_z
      - .offset:         90
        .size:           2
        .value_kind:     hidden_remainder_x
      - .offset:         92
        .size:           2
        .value_kind:     hidden_remainder_y
      - .offset:         94
        .size:           2
        .value_kind:     hidden_remainder_z
      - .offset:         112
        .size:           8
        .value_kind:     hidden_global_offset_x
      - .offset:         120
        .size:           8
        .value_kind:     hidden_global_offset_y
      - .offset:         128
        .size:           8
        .value_kind:     hidden_global_offset_z
      - .offset:         136
        .size:           2
        .value_kind:     hidden_grid_dims
    .group_segment_fixed_size: 0
    .kernarg_segment_align: 8
    .kernarg_segment_size: 328
    .language:       OpenCL C
    .language_version:
      - 2
      - 0
    .max_flat_workgroup_size: 1024
    .name:           _Z15thermalEquationPA400_A400_dS1_S1_S1_ddddd
    .private_segment_fixed_size: 0
    .sgpr_count:     28
    .sgpr_spill_count: 0
    .symbol:         _Z15thermalEquationPA400_A400_dS1_S1_S1_ddddd.kd
    .uniform_work_group_size: 1
    .uses_dynamic_stack: false
    .vgpr_count:     40
    .vgpr_spill_count: 0
    .wavefront_size: 64
  - .agpr_count:     0
    .args:
      - .address_space:  global
        .offset:         0
        .size:           8
        .value_kind:     global_buffer
      - .offset:         8
        .size:           8
        .value_kind:     by_value
      - .offset:         16
        .size:           4
        .value_kind:     hidden_block_count_x
      - .offset:         20
        .size:           4
        .value_kind:     hidden_block_count_y
      - .offset:         24
        .size:           4
        .value_kind:     hidden_block_count_z
      - .offset:         28
        .size:           2
        .value_kind:     hidden_group_size_x
      - .offset:         30
        .size:           2
        .value_kind:     hidden_group_size_y
      - .offset:         32
        .size:           2
        .value_kind:     hidden_group_size_z
      - .offset:         34
        .size:           2
        .value_kind:     hidden_remainder_x
      - .offset:         36
        .size:           2
        .value_kind:     hidden_remainder_y
      - .offset:         38
        .size:           2
        .value_kind:     hidden_remainder_z
      - .offset:         56
        .size:           8
        .value_kind:     hidden_global_offset_x
      - .offset:         64
        .size:           8
        .value_kind:     hidden_global_offset_y
      - .offset:         72
        .size:           8
        .value_kind:     hidden_global_offset_z
      - .offset:         80
        .size:           2
        .value_kind:     hidden_grid_dims
    .group_segment_fixed_size: 0
    .kernarg_segment_align: 8
    .kernarg_segment_size: 272
    .language:       OpenCL C
    .language_version:
      - 2
      - 0
    .max_flat_workgroup_size: 1024
    .name:           _Z19boundaryConditionsUPA400_A400_dd
    .private_segment_fixed_size: 0
    .sgpr_count:     20
    .sgpr_spill_count: 0
    .symbol:         _Z19boundaryConditionsUPA400_A400_dd.kd
    .uniform_work_group_size: 1
    .uses_dynamic_stack: false
    .vgpr_count:     8
    .vgpr_spill_count: 0
    .wavefront_size: 64
  - .agpr_count:     0
    .args:
      - .address_space:  global
        .offset:         0
        .size:           8
        .value_kind:     global_buffer
      - .address_space:  global
        .offset:         8
        .size:           8
        .value_kind:     global_buffer
      - .offset:         16
        .size:           4
        .value_kind:     hidden_block_count_x
      - .offset:         20
        .size:           4
        .value_kind:     hidden_block_count_y
      - .offset:         24
        .size:           4
        .value_kind:     hidden_block_count_z
      - .offset:         28
        .size:           2
        .value_kind:     hidden_group_size_x
      - .offset:         30
        .size:           2
        .value_kind:     hidden_group_size_y
      - .offset:         32
        .size:           2
        .value_kind:     hidden_group_size_z
      - .offset:         34
        .size:           2
        .value_kind:     hidden_remainder_x
      - .offset:         36
        .size:           2
        .value_kind:     hidden_remainder_y
      - .offset:         38
        .size:           2
        .value_kind:     hidden_remainder_z
      - .offset:         56
        .size:           8
        .value_kind:     hidden_global_offset_x
      - .offset:         64
        .size:           8
        .value_kind:     hidden_global_offset_y
      - .offset:         72
        .size:           8
        .value_kind:     hidden_global_offset_z
      - .offset:         80
        .size:           2
        .value_kind:     hidden_grid_dims
    .group_segment_fixed_size: 0
    .kernarg_segment_align: 8
    .kernarg_segment_size: 272
    .language:       OpenCL C
    .language_version:
      - 2
      - 0
    .max_flat_workgroup_size: 1024
    .name:           _Z8swapGridPA400_A400_dS1_
    .private_segment_fixed_size: 0
    .sgpr_count:     13
    .sgpr_spill_count: 0
    .symbol:         _Z8swapGridPA400_A400_dS1_.kd
    .uniform_work_group_size: 1
    .uses_dynamic_stack: false
    .vgpr_count:     8
    .vgpr_spill_count: 0
    .wavefront_size: 64
amdhsa.target:   amdgcn-amd-amdhsa--gfx90a
amdhsa.version:
  - 1
  - 2
...

	.end_amdgpu_metadata
